;; amdgpu-corpus repo=ROCm/rocFFT kind=compiled arch=gfx1030 opt=O3
	.text
	.amdgcn_target "amdgcn-amd-amdhsa--gfx1030"
	.amdhsa_code_object_version 6
	.protected	bluestein_single_back_len462_dim1_half_op_CI_CI ; -- Begin function bluestein_single_back_len462_dim1_half_op_CI_CI
	.globl	bluestein_single_back_len462_dim1_half_op_CI_CI
	.p2align	8
	.type	bluestein_single_back_len462_dim1_half_op_CI_CI,@function
bluestein_single_back_len462_dim1_half_op_CI_CI: ; @bluestein_single_back_len462_dim1_half_op_CI_CI
; %bb.0:
	s_load_dwordx4 s[0:3], s[4:5], 0x28
	v_mul_u32_u24_e32 v1, 0x354, v0
	v_lshrrev_b32_e32 v1, 16, v1
	v_mad_u64_u32 v[8:9], null, s6, 3, v[1:2]
	v_mov_b32_e32 v9, 0
	s_waitcnt lgkmcnt(0)
	v_cmp_gt_u64_e32 vcc_lo, s[0:1], v[8:9]
	s_and_saveexec_b32 s0, vcc_lo
	s_cbranch_execz .LBB0_23
; %bb.1:
	v_mul_hi_u32 v2, 0xaaaaaaab, v8
	s_clause 0x1
	s_load_dwordx2 s[20:21], s[4:5], 0x0
	s_load_dwordx2 s[12:13], s[4:5], 0x38
	v_mul_lo_u16 v1, 0x4d, v1
	v_sub_nc_u16 v0, v0, v1
	v_lshrrev_b32_e32 v2, 1, v2
	v_and_b32_e32 v22, 0xffff, v0
	v_lshl_add_u32 v2, v2, 1, v2
	v_cmp_gt_u16_e32 vcc_lo, 42, v0
	v_lshlrev_b32_e32 v21, 2, v22
	v_sub_nc_u32_e32 v1, v8, v2
	v_mul_u32_u24_e32 v24, 0x1ce, v1
	v_lshlrev_b32_e32 v23, 2, v24
	s_and_saveexec_b32 s1, vcc_lo
	s_cbranch_execz .LBB0_3
; %bb.2:
	s_load_dwordx2 s[6:7], s[4:5], 0x18
	v_lshl_add_u32 v29, v22, 2, v23
	v_add_nc_u32_e32 v32, v23, v21
	s_waitcnt lgkmcnt(0)
	s_load_dwordx4 s[8:11], s[6:7], 0x0
	s_waitcnt lgkmcnt(0)
	v_mad_u64_u32 v[0:1], null, s10, v8, 0
	v_mad_u64_u32 v[2:3], null, s8, v22, 0
	s_mul_i32 s6, s9, 0xa8
	s_mul_hi_u32 s7, s8, 0xa8
	s_add_i32 s7, s7, s6
	v_mad_u64_u32 v[4:5], null, s11, v8, v[1:2]
	v_mad_u64_u32 v[5:6], null, s9, v22, v[3:4]
	v_mov_b32_e32 v1, v4
	v_lshlrev_b64 v[0:1], 2, v[0:1]
	v_mov_b32_e32 v3, v5
	s_clause 0x1
	global_load_dword v4, v21, s[20:21]
	global_load_dword v5, v21, s[20:21] offset:168
	v_add_co_u32 v0, s0, s2, v0
	v_lshlrev_b64 v[2:3], 2, v[2:3]
	v_add_co_ci_u32_e64 v1, s0, s3, v1, s0
	s_mul_i32 s2, s8, 0xa8
	v_add_co_u32 v0, s0, v0, v2
	v_add_co_ci_u32_e64 v1, s0, v1, v3, s0
	v_add_co_u32 v2, s0, v0, s2
	v_add_co_ci_u32_e64 v3, s0, s7, v1, s0
	s_clause 0x1
	global_load_dword v6, v[0:1], off
	global_load_dword v7, v[2:3], off
	v_add_co_u32 v0, s0, v2, s2
	v_add_co_ci_u32_e64 v1, s0, s7, v3, s0
	v_add_co_u32 v2, s0, v0, s2
	v_add_co_ci_u32_e64 v3, s0, s7, v1, s0
	global_load_dword v9, v[0:1], off
	v_add_co_u32 v0, s0, v2, s2
	v_add_co_ci_u32_e64 v1, s0, s7, v3, s0
	s_clause 0x1
	global_load_dword v10, v21, s[20:21] offset:336
	global_load_dword v11, v21, s[20:21] offset:504
	s_clause 0x1
	global_load_dword v12, v[2:3], off
	global_load_dword v13, v[0:1], off
	v_add_co_u32 v0, s0, v0, s2
	v_add_co_ci_u32_e64 v1, s0, s7, v1, s0
	s_clause 0x3
	global_load_dword v14, v21, s[20:21] offset:672
	global_load_dword v15, v21, s[20:21] offset:840
	global_load_dword v16, v21, s[20:21] offset:1008
	global_load_dword v17, v21, s[20:21] offset:1176
	v_add_co_u32 v2, s0, v0, s2
	v_add_co_ci_u32_e64 v3, s0, s7, v1, s0
	global_load_dword v18, v[0:1], off
	v_add_co_u32 v0, s0, v2, s2
	v_add_co_ci_u32_e64 v1, s0, s7, v3, s0
	global_load_dword v19, v[2:3], off
	;; [unrolled: 3-line block ×4, first 2 shown]
	v_add_co_u32 v2, s0, v0, s2
	v_add_co_ci_u32_e64 v3, s0, s7, v1, s0
	global_load_dword v26, v21, s[20:21] offset:1344
	global_load_dword v0, v[0:1], off
	global_load_dword v1, v[2:3], off
	s_clause 0x1
	global_load_dword v2, v21, s[20:21] offset:1512
	global_load_dword v3, v21, s[20:21] offset:1680
	s_waitcnt vmcnt(19)
	v_lshrrev_b32_e32 v27, 16, v6
	v_mul_f16_sdwa v28, v4, v6 dst_sel:DWORD dst_unused:UNUSED_PAD src0_sel:WORD_1 src1_sel:DWORD
	s_waitcnt vmcnt(18)
	v_lshrrev_b32_e32 v31, 16, v7
	v_mul_f16_sdwa v30, v4, v27 dst_sel:DWORD dst_unused:UNUSED_PAD src0_sel:WORD_1 src1_sel:DWORD
	v_fma_f16 v27, v4, v27, -v28
	v_mul_f16_sdwa v28, v5, v7 dst_sel:DWORD dst_unused:UNUSED_PAD src0_sel:WORD_1 src1_sel:DWORD
	v_fmac_f16_e32 v30, v4, v6
	v_mul_f16_sdwa v4, v5, v31 dst_sel:DWORD dst_unused:UNUSED_PAD src0_sel:WORD_1 src1_sel:DWORD
	v_fma_f16 v28, v5, v31, -v28
	s_waitcnt vmcnt(17)
	v_lshrrev_b32_e32 v6, 16, v9
	s_waitcnt vmcnt(16)
	v_mul_f16_sdwa v33, v10, v9 dst_sel:DWORD dst_unused:UNUSED_PAD src0_sel:WORD_1 src1_sel:DWORD
	v_fmac_f16_e32 v4, v5, v7
	s_waitcnt vmcnt(14)
	v_lshrrev_b32_e32 v7, 16, v12
	v_mul_f16_sdwa v5, v10, v6 dst_sel:DWORD dst_unused:UNUSED_PAD src0_sel:WORD_1 src1_sel:DWORD
	v_pack_b32_f16 v27, v30, v27
	v_fma_f16 v6, v10, v6, -v33
	v_mul_f16_sdwa v30, v11, v12 dst_sel:DWORD dst_unused:UNUSED_PAD src0_sel:WORD_1 src1_sel:DWORD
	v_pack_b32_f16 v4, v4, v28
	v_fmac_f16_e32 v5, v10, v9
	s_waitcnt vmcnt(13)
	v_lshrrev_b32_e32 v10, 16, v13
	v_mul_f16_sdwa v9, v11, v7 dst_sel:DWORD dst_unused:UNUSED_PAD src0_sel:WORD_1 src1_sel:DWORD
	ds_write_b32 v29, v27
	s_waitcnt vmcnt(12)
	v_mul_f16_sdwa v27, v14, v13 dst_sel:DWORD dst_unused:UNUSED_PAD src0_sel:WORD_1 src1_sel:DWORD
	v_pack_b32_f16 v5, v5, v6
	v_mul_f16_sdwa v6, v14, v10 dst_sel:DWORD dst_unused:UNUSED_PAD src0_sel:WORD_1 src1_sel:DWORD
	v_fma_f16 v7, v11, v7, -v30
	v_fmac_f16_e32 v9, v11, v12
	s_waitcnt vmcnt(8)
	v_lshrrev_b32_e32 v11, 16, v18
	v_fma_f16 v10, v14, v10, -v27
	v_mul_f16_sdwa v12, v15, v18 dst_sel:DWORD dst_unused:UNUSED_PAD src0_sel:WORD_1 src1_sel:DWORD
	v_fmac_f16_e32 v6, v14, v13
	s_waitcnt vmcnt(7)
	v_lshrrev_b32_e32 v13, 16, v19
	v_pack_b32_f16 v7, v9, v7
	v_mul_f16_sdwa v9, v15, v11 dst_sel:DWORD dst_unused:UNUSED_PAD src0_sel:WORD_1 src1_sel:DWORD
	v_fma_f16 v11, v15, v11, -v12
	v_mul_f16_sdwa v12, v16, v19 dst_sel:DWORD dst_unused:UNUSED_PAD src0_sel:WORD_1 src1_sel:DWORD
	v_pack_b32_f16 v6, v6, v10
	v_mul_f16_sdwa v10, v16, v13 dst_sel:DWORD dst_unused:UNUSED_PAD src0_sel:WORD_1 src1_sel:DWORD
	v_fmac_f16_e32 v9, v15, v18
	s_waitcnt vmcnt(6)
	v_lshrrev_b32_e32 v14, 16, v20
	v_mul_f16_sdwa v15, v17, v20 dst_sel:DWORD dst_unused:UNUSED_PAD src0_sel:WORD_1 src1_sel:DWORD
	v_fma_f16 v12, v16, v13, -v12
	v_fmac_f16_e32 v10, v16, v19
	v_pack_b32_f16 v9, v9, v11
	v_mul_f16_sdwa v11, v17, v14 dst_sel:DWORD dst_unused:UNUSED_PAD src0_sel:WORD_1 src1_sel:DWORD
	v_fma_f16 v13, v17, v14, -v15
	s_waitcnt vmcnt(5)
	v_lshrrev_b32_e32 v14, 16, v25
	s_waitcnt vmcnt(4)
	v_mul_f16_sdwa v15, v26, v25 dst_sel:DWORD dst_unused:UNUSED_PAD src0_sel:WORD_1 src1_sel:DWORD
	v_pack_b32_f16 v10, v10, v12
	s_waitcnt vmcnt(3)
	v_lshrrev_b32_e32 v12, 16, v0
	s_waitcnt vmcnt(2)
	v_lshrrev_b32_e32 v16, 16, v1
	v_fmac_f16_e32 v11, v17, v20
	v_mul_f16_sdwa v17, v26, v14 dst_sel:DWORD dst_unused:UNUSED_PAD src0_sel:WORD_1 src1_sel:DWORD
	v_fma_f16 v14, v26, v14, -v15
	s_waitcnt vmcnt(1)
	v_mul_f16_sdwa v15, v2, v0 dst_sel:DWORD dst_unused:UNUSED_PAD src0_sel:WORD_1 src1_sel:DWORD
	v_mul_f16_sdwa v18, v2, v12 dst_sel:DWORD dst_unused:UNUSED_PAD src0_sel:WORD_1 src1_sel:DWORD
	s_waitcnt vmcnt(0)
	v_mul_f16_sdwa v19, v3, v16 dst_sel:DWORD dst_unused:UNUSED_PAD src0_sel:WORD_1 src1_sel:DWORD
	v_mul_f16_sdwa v20, v3, v1 dst_sel:DWORD dst_unused:UNUSED_PAD src0_sel:WORD_1 src1_sel:DWORD
	v_fmac_f16_e32 v17, v26, v25
	v_fma_f16 v12, v2, v12, -v15
	v_fmac_f16_e32 v18, v2, v0
	v_fmac_f16_e32 v19, v3, v1
	v_fma_f16 v0, v3, v16, -v20
	v_pack_b32_f16 v1, v11, v13
	v_pack_b32_f16 v2, v17, v14
	v_add_nc_u32_e32 v3, 0x400, v32
	v_pack_b32_f16 v11, v18, v12
	v_pack_b32_f16 v0, v19, v0
	ds_write2_b32 v32, v4, v5 offset0:42 offset1:84
	ds_write2_b32 v32, v7, v6 offset0:126 offset1:168
	ds_write2_b32 v32, v9, v10 offset0:210 offset1:252
	ds_write2_b32 v3, v1, v2 offset0:38 offset1:80
	ds_write2_b32 v3, v11, v0 offset0:122 offset1:164
.LBB0_3:
	s_or_b32 exec_lo, exec_lo, s1
	s_load_dwordx2 s[0:1], s[4:5], 0x20
	v_mov_b32_e32 v2, 0
	s_waitcnt lgkmcnt(0)
	s_barrier
	buffer_gl0_inv
                                        ; implicit-def: $vgpr15
                                        ; implicit-def: $vgpr1
                                        ; implicit-def: $vgpr5
                                        ; implicit-def: $vgpr7
                                        ; implicit-def: $vgpr14
	s_and_saveexec_b32 s2, vcc_lo
	s_cbranch_execz .LBB0_5
; %bb.4:
	v_lshl_add_u32 v9, v24, 2, v21
	v_add_nc_u32_e32 v0, 0x200, v9
	v_add_nc_u32_e32 v1, 0x400, v9
	ds_read2_b32 v[2:3], v9 offset1:42
	ds_read2_b32 v[13:14], v9 offset0:84 offset1:126
	ds_read2_b32 v[6:7], v9 offset0:168 offset1:210
	;; [unrolled: 1-line block ×4, first 2 shown]
	ds_read_b32 v15, v9 offset:1680
.LBB0_5:
	s_or_b32 exec_lo, exec_lo, s2
	s_waitcnt lgkmcnt(0)
	v_pk_add_f16 v9, v3, v15 neg_lo:[0,1] neg_hi:[0,1]
	v_mov_b32_e32 v10, 0xb853
	v_pk_add_f16 v46, v15, v3
	v_mov_b32_e32 v11, 0xbbeb
	v_mov_b32_e32 v12, 0xba0c
	v_mul_f16_e32 v36, 0xbbeb, v9
	v_mul_f16_sdwa v17, v9, v10 dst_sel:DWORD dst_unused:UNUSED_PAD src0_sel:WORD_1 src1_sel:DWORD
	v_lshrrev_b32_e32 v50, 16, v46
	v_mul_f16_sdwa v35, v9, v11 dst_sel:DWORD dst_unused:UNUSED_PAD src0_sel:WORD_1 src1_sel:DWORD
	v_mov_b32_e32 v28, 0xb482
	v_mul_f16_sdwa v39, v9, v12 dst_sel:DWORD dst_unused:UNUSED_PAD src0_sel:WORD_1 src1_sel:DWORD
	v_fmamk_f16 v19, v46, 0x3abb, v17
	v_fma_f16 v27, v50, 0xb08e, -v36
	v_pk_add_f16 v31, v13, v1 neg_lo:[0,1] neg_hi:[0,1]
	v_mul_f16_sdwa v51, v9, v28 dst_sel:DWORD dst_unused:UNUSED_PAD src0_sel:WORD_1 src1_sel:DWORD
	v_mul_f16_e32 v61, 0xb482, v9
	v_add_f16_e32 v26, v19, v2
	v_fmamk_f16 v19, v46, 0xb08e, v35
	v_mul_f16_e32 v20, 0xbb47, v9
	v_add_f16_sdwa v30, v27, v2 dst_sel:DWORD dst_unused:UNUSED_PAD src0_sel:DWORD src1_sel:WORD_1
	v_fmamk_f16 v27, v46, 0xb93d, v39
	v_fmamk_f16 v32, v46, 0xbbad, v51
	v_add_f16_e32 v29, v19, v2
	v_mov_b32_e32 v19, 0xbb47
	v_pk_add_f16 v55, v1, v13
	v_fma_f16 v33, v50, 0xbbad, -v61
	v_mov_b32_e32 v37, 0x3482
	v_pk_mul_f16 v18, 0x3abb36a6, v46
	v_mul_f16_sdwa v19, v31, v19 dst_sel:DWORD dst_unused:UNUSED_PAD src0_sel:WORD_1 src1_sel:DWORD
	v_fma_f16 v25, v50, 0x36a6, -v20
	v_mul_f16_e32 v45, 0xba0c, v9
	v_add_f16_e32 v34, v27, v2
	v_add_f16_e32 v42, v32, v2
	v_fmamk_f16 v27, v55, 0x36a6, v19
	v_add_f16_sdwa v44, v33, v2 dst_sel:DWORD dst_unused:UNUSED_PAD src0_sel:DWORD src1_sel:WORD_1
	v_pk_mul_f16 v32, 0x36a6b93d, v55
	v_lshrrev_b32_e32 v57, 16, v55
	v_mul_f16_e32 v33, 0xba0c, v31
	v_mov_b32_e32 v38, 0x3beb
	v_mul_f16_sdwa v40, v31, v37 dst_sel:DWORD dst_unused:UNUSED_PAD src0_sel:WORD_1 src1_sel:DWORD
	v_mov_b32_e32 v47, 0x3853
	v_pk_fma_f16 v16, 0xbb47b853, v9, v18 op_sel:[0,0,1] op_sel_hi:[1,1,0] neg_lo:[0,1,0] neg_hi:[0,1,0]
	v_pk_fma_f16 v18, 0xbb47b853, v9, v18 op_sel:[0,0,1] op_sel_hi:[1,1,0]
	v_add_f16_sdwa v25, v25, v2 dst_sel:DWORD dst_unused:UNUSED_PAD src0_sel:DWORD src1_sel:WORD_1
	v_fma_f16 v9, v50, 0xb93d, -v45
	v_add_f16_e32 v26, v27, v26
	v_pk_fma_f16 v27, 0xba0cbb47, v31, v32 op_sel:[0,0,1] op_sel_hi:[1,1,0] neg_lo:[0,1,0] neg_hi:[0,1,0]
	v_fma_f16 v41, v57, 0xb93d, -v33
	v_pk_fma_f16 v32, 0xba0cbb47, v31, v32 op_sel:[0,0,1] op_sel_hi:[1,1,0]
	v_mul_f16_e32 v43, 0x3482, v31
	v_mul_f16_sdwa v48, v31, v38 dst_sel:DWORD dst_unused:UNUSED_PAD src0_sel:WORD_1 src1_sel:DWORD
	v_mul_f16_e32 v56, 0x3beb, v31
	v_fmamk_f16 v37, v55, 0xbbad, v40
	v_mul_f16_sdwa v63, v31, v47 dst_sel:DWORD dst_unused:UNUSED_PAD src0_sel:WORD_1 src1_sel:DWORD
	v_mul_f16_e32 v70, 0x3853, v31
	v_pk_add_f16 v31, v14, v0 neg_lo:[0,1] neg_hi:[0,1]
	v_add_f16_sdwa v9, v9, v2 dst_sel:DWORD dst_unused:UNUSED_PAD src0_sel:DWORD src1_sel:WORD_1
	v_add_f16_e32 v25, v41, v25
	v_fma_f16 v38, v57, 0xbbad, -v43
	v_fmamk_f16 v41, v55, 0xb08e, v48
	v_fma_f16 v49, v57, 0xb08e, -v56
	v_add_f16_e32 v29, v37, v29
	v_pk_add_f16 v62, v0, v14
	v_fmamk_f16 v47, v55, 0x3abb, v63
	v_mov_b32_e32 v73, 0x3b47
	v_mul_f16_sdwa v37, v31, v11 dst_sel:DWORD dst_unused:UNUSED_PAD src0_sel:WORD_1 src1_sel:DWORD
	v_add_f16_e32 v30, v38, v30
	v_add_f16_e32 v34, v41, v34
	;; [unrolled: 1-line block ×3, first 2 shown]
	v_fma_f16 v49, v57, 0x3abb, -v70
	v_lshrrev_b32_e32 v68, 16, v62
	v_mul_f16_e32 v38, 0x3482, v31
	v_mul_f16_sdwa v41, v31, v73 dst_sel:DWORD dst_unused:UNUSED_PAD src0_sel:WORD_1 src1_sel:DWORD
	v_add_f16_e32 v47, v47, v42
	v_fmamk_f16 v42, v62, 0xb08e, v37
	v_mul_f16_e32 v52, 0x3b47, v31
	v_add_f16_e32 v53, v49, v44
	v_fma_f16 v44, v68, 0xbbad, -v38
	v_mul_f16_sdwa v59, v31, v10 dst_sel:DWORD dst_unused:UNUSED_PAD src0_sel:WORD_1 src1_sel:DWORD
	v_fmamk_f16 v49, v62, 0x36a6, v41
	v_add_f16_e32 v26, v42, v26
	v_fma_f16 v42, v68, 0x36a6, -v52
	v_mul_f16_sdwa v74, v31, v12 dst_sel:DWORD dst_unused:UNUSED_PAD src0_sel:WORD_1 src1_sel:DWORD
	v_pk_add_f16 v60, v6, v5 neg_lo:[0,1] neg_hi:[0,1]
	v_add_f16_e32 v25, v44, v25
	v_fmamk_f16 v44, v62, 0x3abb, v59
	v_mul_f16_e32 v64, 0xb853, v31
	v_add_f16_e32 v29, v49, v29
	v_add_f16_e32 v30, v42, v30
	v_fmamk_f16 v49, v62, 0xb93d, v74
	v_pk_add_f16 v75, v5, v6
	v_mul_f16_sdwa v42, v60, v12 dst_sel:DWORD dst_unused:UNUSED_PAD src0_sel:WORD_1 src1_sel:DWORD
	v_add_f16_e32 v34, v44, v34
	v_fma_f16 v44, v68, 0x3abb, -v64
	v_pk_mul_f16 v54, 0xb08ebbad, v62
	v_mul_f16_e32 v79, 0xba0c, v31
	v_add_f16_e32 v58, v49, v47
	v_fmamk_f16 v66, v75, 0xb93d, v42
	v_lshrrev_b32_e32 v77, 16, v75
	v_mul_f16_e32 v49, 0x3beb, v60
	v_add_f16_e32 v9, v44, v9
	v_pk_fma_f16 v44, 0x3482bbeb, v31, v54 op_sel:[0,0,1] op_sel_hi:[1,1,0] neg_lo:[0,1,0] neg_hi:[0,1,0]
	v_fma_f16 v65, v68, 0xb93d, -v79
	v_pk_fma_f16 v47, 0x3482bbeb, v31, v54 op_sel:[0,0,1] op_sel_hi:[1,1,0]
	v_mul_f16_sdwa v54, v60, v10 dst_sel:DWORD dst_unused:UNUSED_PAD src0_sel:WORD_1 src1_sel:DWORD
	v_add_f16_e32 v26, v66, v26
	v_fma_f16 v31, v77, 0xb08e, -v49
	v_mul_f16_e32 v66, 0xb853, v60
	v_add_f16_e32 v10, v65, v53
	v_fmamk_f16 v53, v75, 0x3abb, v54
	v_mul_f16_sdwa v71, v60, v28 dst_sel:DWORD dst_unused:UNUSED_PAD src0_sel:WORD_1 src1_sel:DWORD
	v_mul_f16_e32 v76, 0xb482, v60
	v_add_f16_e32 v25, v31, v25
	v_fma_f16 v31, v77, 0x3abb, -v66
	v_add_f16_e32 v29, v53, v29
	v_fmamk_f16 v53, v75, 0xbbad, v71
	v_fma_f16 v65, v77, 0xbbad, -v76
	v_mul_f16_sdwa v80, v60, v73 dst_sel:DWORD dst_unused:UNUSED_PAD src0_sel:WORD_1 src1_sel:DWORD
	v_add_f16_e32 v30, v31, v30
	v_pk_add_f16 v31, v7, v4 neg_lo:[0,1] neg_hi:[0,1]
	v_add_f16_e32 v87, v53, v34
	v_add_f16_e32 v34, v65, v9
	v_fmamk_f16 v9, v75, 0x36a6, v80
	v_mul_f16_e32 v84, 0x3b47, v60
	v_mul_f16_sdwa v53, v31, v28 dst_sel:DWORD dst_unused:UNUSED_PAD src0_sel:WORD_1 src1_sel:DWORD
	v_pk_add_f16 v78, v4, v7
	v_add_f16_sdwa v65, v18, v2 dst_sel:DWORD dst_unused:UNUSED_PAD src0_sel:WORD_1 src1_sel:DWORD
	v_pk_mul_f16 v28, 0xb93db08e, v75
	v_add_f16_e32 v88, v9, v58
	v_fma_f16 v9, v77, 0x36a6, -v84
	v_fmamk_f16 v67, v78, 0xbbad, v53
	v_add_f16_sdwa v65, v32, v65 dst_sel:DWORD dst_unused:UNUSED_PAD src0_sel:WORD_1 src1_sel:DWORD
	v_pk_fma_f16 v58, 0x3bebba0c, v60, v28 op_sel:[0,0,1] op_sel_hi:[1,1,0] neg_lo:[0,1,0] neg_hi:[0,1,0]
	v_pk_fma_f16 v60, 0x3bebba0c, v60, v28 op_sel:[0,0,1] op_sel_hi:[1,1,0]
	v_add_f16_e32 v89, v9, v10
	v_add_f16_e32 v26, v67, v26
	v_mul_f16_sdwa v69, v31, v12 dst_sel:DWORD dst_unused:UNUSED_PAD src0_sel:WORD_1 src1_sel:DWORD
	v_add_f16_sdwa v9, v47, v65 dst_sel:DWORD dst_unused:UNUSED_PAD src0_sel:WORD_1 src1_sel:DWORD
	v_pk_mul_f16 v12, 0xbbad3abb, v78
	v_lshrrev_b32_e32 v81, 16, v78
	v_mul_f16_e32 v67, 0x3853, v31
	v_fmamk_f16 v10, v78, 0xb93d, v69
	v_add_f16_sdwa v28, v60, v9 dst_sel:DWORD dst_unused:UNUSED_PAD src0_sel:WORD_1 src1_sel:DWORD
	v_pk_fma_f16 v65, 0x3853b482, v31, v12 op_sel:[0,0,1] op_sel_hi:[1,1,0]
	v_add_f16_sdwa v85, v16, v2 dst_sel:DWORD dst_unused:UNUSED_PAD src0_sel:DWORD src1_sel:WORD_1
	v_fma_f16 v82, v81, 0x3abb, -v67
	v_mul_f16_e32 v72, 0xba0c, v31
	v_add_f16_e32 v9, v10, v29
	v_add_f16_sdwa v10, v65, v28 dst_sel:DWORD dst_unused:UNUSED_PAD src0_sel:WORD_1 src1_sel:DWORD
	s_load_dwordx2 s[2:3], s[4:5], 0x8
	v_add_f16_e32 v28, v82, v25
	v_add_f16_e32 v25, v27, v85
	v_fma_f16 v29, v81, 0xb93d, -v72
	v_mul_f16_e32 v83, 0x3b47, v31
	v_mul_f16_sdwa v85, v31, v11 dst_sel:DWORD dst_unused:UNUSED_PAD src0_sel:WORD_1 src1_sel:DWORD
	v_mul_f16_e32 v86, 0xbbeb, v31
	v_add_f16_e32 v25, v44, v25
	v_mul_f16_sdwa v82, v31, v73 dst_sel:DWORD dst_unused:UNUSED_PAD src0_sel:WORD_1 src1_sel:DWORD
	v_add_f16_e32 v29, v29, v30
	v_fma_f16 v11, v81, 0x36a6, -v83
	v_fmamk_f16 v30, v78, 0xb08e, v85
	v_pk_fma_f16 v73, 0x3853b482, v31, v12 op_sel:[0,0,1] op_sel_hi:[1,1,0] neg_lo:[0,1,0] neg_hi:[0,1,0]
	v_fma_f16 v12, v81, 0xb08e, -v86
	v_add_f16_e32 v25, v58, v25
	v_fmamk_f16 v90, v78, 0x36a6, v82
	v_add_f16_e32 v31, v11, v34
	v_add_f16_e32 v11, v30, v88
	;; [unrolled: 1-line block ×5, first 2 shown]
	v_mul_lo_u16 v25, v22, 11
	s_waitcnt lgkmcnt(0)
	s_barrier
	buffer_gl0_inv
	s_and_saveexec_b32 s4, vcc_lo
	s_cbranch_execz .LBB0_7
; %bb.6:
	v_mul_f16_e32 v87, 0xbbad, v50
	v_mul_f16_e32 v90, 0x3abb, v57
	;; [unrolled: 1-line block ×5, first 2 shown]
	v_add_f16_e32 v61, v61, v87
	v_add_f16_e32 v70, v70, v90
	;; [unrolled: 1-line block ×3, first 2 shown]
	v_pk_add_f16 v3, v3, v2
	v_add_f16_e32 v20, v20, v89
	v_add_f16_sdwa v61, v61, v2 dst_sel:DWORD dst_unused:UNUSED_PAD src0_sel:DWORD src1_sel:WORD_1
	v_mul_f16_e32 v88, 0x3abb, v46
	v_mul_f16_e32 v91, 0xb08e, v46
	v_pk_add_f16 v3, v13, v3
	v_mul_f16_e32 v93, 0xb93d, v46
	v_add_f16_e32 v61, v70, v61
	v_mul_f16_e32 v70, 0xb93d, v57
	v_mul_f16_e32 v46, 0xbbad, v46
	v_add_f16_sdwa v20, v20, v2 dst_sel:DWORD dst_unused:UNUSED_PAD src0_sel:DWORD src1_sel:WORD_1
	v_pk_add_f16 v3, v14, v3
	v_add_f16_e32 v61, v79, v61
	v_add_f16_e32 v79, v84, v95
	v_mul_f16_e32 v84, 0xb08e, v81
	v_add_f16_e32 v33, v33, v70
	v_mul_f16_e32 v87, 0xb08e, v50
	v_mul_f16_e32 v50, 0xb93d, v50
	v_add_f16_e32 v61, v79, v61
	v_add_f16_e32 v84, v86, v84
	v_mul_f16_e32 v86, 0xbbad, v68
	v_sub_f16_e32 v46, v46, v51
	v_mul_f16_e32 v51, 0x3abb, v55
	v_add_f16_e32 v20, v33, v20
	v_add_f16_e32 v61, v84, v61
	v_mul_f16_e32 v84, 0x36a6, v75
	v_add_f16_e32 v14, v38, v86
	v_pk_add_f16 v3, v6, v3
	v_mul_f16_e32 v90, 0x36a6, v55
	v_sub_f16_e32 v51, v51, v63
	v_sub_f16_e32 v80, v84, v80
	v_mul_f16_e32 v84, 0xb08e, v77
	v_add_f16_e32 v46, v46, v2
	v_mul_f16_e32 v79, 0xb93d, v62
	v_add_f16_e32 v45, v45, v50
	v_sub_f16_e32 v39, v93, v39
	v_add_f16_e32 v36, v36, v87
	v_sub_f16_e32 v35, v91, v35
	v_sub_f16_e32 v17, v88, v17
	v_add_f16_e32 v6, v14, v20
	v_add_f16_e32 v14, v49, v84
	v_pk_add_f16 v3, v7, v3
	v_bfi_b32 v7, 0xffff, v18, v16
	v_mul_f16_e32 v92, 0xbbad, v55
	v_mul_f16_e32 v94, 0xbbad, v57
	;; [unrolled: 1-line block ×5, first 2 shown]
	v_add_f16_e32 v46, v51, v46
	v_sub_f16_e32 v74, v79, v74
	v_add_f16_sdwa v45, v45, v2 dst_sel:DWORD dst_unused:UNUSED_PAD src0_sel:DWORD src1_sel:WORD_1
	v_add_f16_e32 v39, v39, v2
	v_add_f16_sdwa v36, v36, v2 dst_sel:DWORD dst_unused:UNUSED_PAD src0_sel:DWORD src1_sel:WORD_1
	v_add_f16_e32 v35, v35, v2
	v_add_f16_e32 v17, v17, v2
	v_sub_f16_e32 v19, v90, v19
	v_add_f16_e32 v6, v14, v6
	v_bfi_b32 v14, 0xffff, v32, v27
	v_pk_add_f16 v3, v4, v3
	v_pk_add_f16 v2, v7, v2 op_sel:[0,1] op_sel_hi:[1,0]
	v_mul_f16_e32 v51, 0x36a6, v62
	v_mul_f16_e32 v79, 0x36a6, v68
	;; [unrolled: 1-line block ×4, first 2 shown]
	v_add_f16_e32 v56, v56, v57
	v_sub_f16_e32 v48, v55, v48
	v_add_f16_e32 v43, v43, v94
	v_sub_f16_e32 v40, v92, v40
	v_add_f16_e32 v46, v74, v46
	v_mul_f16_e32 v74, 0xb93d, v75
	v_add_f16_e32 v16, v19, v17
	v_sub_f16_e32 v4, v63, v37
	v_bfi_b32 v17, 0xffff, v47, v44
	v_pk_add_f16 v3, v5, v3
	v_pk_add_f16 v2, v14, v2
	v_mul_f16_e32 v50, 0x3abb, v75
	v_mul_f16_e32 v57, 0x3abb, v77
	;; [unrolled: 1-line block ×4, first 2 shown]
	v_add_f16_e32 v45, v56, v45
	v_add_f16_e32 v64, v64, v68
	;; [unrolled: 1-line block ×3, first 2 shown]
	v_sub_f16_e32 v48, v62, v59
	v_add_f16_e32 v36, v43, v36
	v_add_f16_e32 v43, v52, v79
	;; [unrolled: 1-line block ×3, first 2 shown]
	v_sub_f16_e32 v40, v51, v41
	v_add_f16_e32 v46, v80, v46
	v_mul_f16_e32 v80, 0xbbad, v78
	v_mul_f16_e32 v93, 0x3abb, v81
	v_add_f16_e32 v4, v4, v16
	v_sub_f16_e32 v5, v74, v42
	v_bfi_b32 v14, 0xffff, v60, v58
	v_pk_add_f16 v0, v0, v3
	v_pk_add_f16 v2, v17, v2
	v_mul_f16_e32 v56, 0xb93d, v78
	v_mul_f16_e32 v68, 0xb08e, v78
	;; [unrolled: 1-line block ×5, first 2 shown]
	v_add_f16_e32 v45, v64, v45
	v_add_f16_e32 v59, v76, v77
	;; [unrolled: 1-line block ×3, first 2 shown]
	v_sub_f16_e32 v48, v75, v71
	v_add_f16_e32 v36, v43, v36
	v_add_f16_e32 v43, v66, v57
	;; [unrolled: 1-line block ×3, first 2 shown]
	v_sub_f16_e32 v35, v50, v54
	v_add_f16_e32 v7, v67, v93
	v_bfi_b32 v3, 0xffff, v65, v73
	v_add_f16_e32 v4, v5, v4
	v_and_b32_e32 v5, 0xffff, v25
	v_pk_add_f16 v0, v1, v0
	v_pk_add_f16 v1, v14, v2
	v_sub_f16_e32 v2, v80, v53
	v_add_f16_e32 v45, v59, v45
	v_add_f16_e32 v59, v83, v81
	;; [unrolled: 1-line block ×3, first 2 shown]
	v_sub_f16_e32 v48, v78, v82
	v_add_f16_e32 v36, v43, v36
	v_add_f16_e32 v40, v72, v55
	;; [unrolled: 1-line block ×3, first 2 shown]
	v_sub_f16_e32 v33, v56, v69
	v_sub_f16_e32 v68, v68, v85
	v_add_f16_e32 v6, v7, v6
	v_add_lshl_u32 v5, v24, v5, 2
	v_pk_add_f16 v0, v15, v0
	v_pk_add_f16 v1, v3, v1
	v_add_f16_e32 v2, v2, v4
	v_add_f16_e32 v45, v59, v45
	;; [unrolled: 1-line block ×6, first 2 shown]
	ds_write_b32 v5, v0
	v_alignbit_b32 v0, v6, v1, 16
	v_pack_b32_f16 v1, v2, v1
	v_pack_b32_f16 v2, v39, v45
	;; [unrolled: 1-line block ×4, first 2 shown]
	v_perm_b32 v6, v34, v11, 0x5040100
	v_perm_b32 v7, v29, v9, 0x5040100
	;; [unrolled: 1-line block ×5, first 2 shown]
	ds_write2_b32 v5, v1, v0 offset0:1 offset1:2
	ds_write2_b32 v5, v3, v2 offset0:3 offset1:4
	;; [unrolled: 1-line block ×5, first 2 shown]
.LBB0_7:
	s_or_b32 exec_lo, exec_lo, s4
	v_and_b32_e32 v0, 0xff, v22
	s_load_dwordx4 s[4:7], s[0:1], 0x0
	s_waitcnt lgkmcnt(0)
	s_barrier
	buffer_gl0_inv
	v_mul_lo_u16 v0, 0x75, v0
	v_add_lshl_u32 v27, v24, v22, 2
	v_mov_b32_e32 v18, 0x42
	v_cmp_gt_u16_e64 s0, 0x42, v22
	v_lshrrev_b16 v0, 8, v0
	v_sub_nc_u16 v1, v22, v0
	v_lshrrev_b16 v1, 1, v1
	v_and_b32_e32 v1, 0x7f, v1
	v_add_nc_u16 v0, v1, v0
	v_lshrrev_b16 v7, 3, v0
	v_mul_lo_u16 v0, v7, 11
	v_mul_u32_u24_sdwa v7, v7, v18 dst_sel:DWORD dst_unused:UNUSED_PAD src0_sel:WORD_0 src1_sel:DWORD
	v_sub_nc_u16 v0, v22, v0
	v_and_b32_e32 v17, 0xff, v0
	v_mad_u64_u32 v[4:5], null, v17, 20, s[2:3]
	v_add_nc_u32_e32 v7, v7, v17
	s_clause 0x1
	global_load_dwordx4 v[0:3], v[4:5], off
	global_load_dword v32, v[4:5], off offset:16
	v_add_nc_u32_e32 v4, 0x400, v27
	ds_read2_b32 v[5:6], v27 offset1:77
	v_add_lshl_u32 v33, v24, v7, 2
	ds_read2_b32 v[13:14], v27 offset0:154 offset1:231
	ds_read2_b32 v[15:16], v4 offset0:52 offset1:129
	s_waitcnt vmcnt(0) lgkmcnt(0)
	s_barrier
	buffer_gl0_inv
	v_lshrrev_b32_e32 v18, 16, v6
	v_lshrrev_b32_e32 v37, 16, v5
	;; [unrolled: 1-line block ×6, first 2 shown]
	v_mul_f16_sdwa v7, v18, v0 dst_sel:DWORD dst_unused:UNUSED_PAD src0_sel:DWORD src1_sel:WORD_1
	v_mul_f16_sdwa v38, v6, v0 dst_sel:DWORD dst_unused:UNUSED_PAD src0_sel:DWORD src1_sel:WORD_1
	;; [unrolled: 1-line block ×10, first 2 shown]
	v_fma_f16 v6, v6, v0, -v7
	v_fmac_f16_e32 v38, v18, v0
	v_fma_f16 v7, v13, v1, -v36
	v_fmac_f16_e32 v39, v17, v1
	;; [unrolled: 2-line block ×5, first 2 shown]
	v_add_f16_e32 v19, v37, v39
	v_add_f16_e32 v40, v38, v41
	v_sub_f16_e32 v18, v39, v43
	v_add_f16_e32 v20, v39, v43
	v_add_f16_e32 v36, v13, v15
	v_sub_f16_e32 v39, v41, v45
	v_add_f16_e32 v41, v41, v45
	v_add_f16_e32 v16, v5, v7
	;; [unrolled: 1-line block ×3, first 2 shown]
	v_sub_f16_e32 v7, v7, v14
	v_add_f16_e32 v35, v6, v13
	v_sub_f16_e32 v13, v13, v15
	v_fmac_f16_e32 v37, -0.5, v20
	v_fmac_f16_e32 v6, -0.5, v36
	;; [unrolled: 1-line block ×3, first 2 shown]
	v_add_f16_e32 v14, v16, v14
	v_fmac_f16_e32 v5, -0.5, v17
	v_fmamk_f16 v41, v7, 0xbaee, v37
	v_fmac_f16_e32 v37, 0x3aee, v7
	v_fmamk_f16 v7, v39, 0x3aee, v6
	v_fmac_f16_e32 v6, 0xbaee, v39
	v_fmamk_f16 v39, v13, 0xbaee, v38
	v_add_f16_e32 v17, v35, v15
	v_fmac_f16_e32 v38, 0x3aee, v13
	v_mul_f16_e32 v42, 0xbaee, v7
	v_add_f16_e32 v16, v19, v43
	v_mul_f16_e32 v13, 0x3aee, v39
	v_fmamk_f16 v20, v18, 0x3aee, v5
	v_fmac_f16_e32 v5, 0xbaee, v18
	v_add_f16_e32 v15, v14, v17
	v_sub_f16_e32 v18, v14, v17
	v_mul_f16_e32 v14, -0.5, v6
	v_mul_f16_e32 v43, -0.5, v38
	v_add_f16_e32 v19, v40, v45
	v_fmac_f16_e32 v13, 0.5, v7
	v_fmac_f16_e32 v42, 0.5, v39
	v_fmac_f16_e32 v14, 0x3aee, v38
	v_fmac_f16_e32 v43, 0xbaee, v6
	v_add_f16_e32 v35, v16, v19
	v_sub_f16_e32 v36, v16, v19
	v_add_f16_e32 v16, v20, v13
	v_add_f16_e32 v40, v41, v42
	;; [unrolled: 1-line block ×4, first 2 shown]
	v_sub_f16_e32 v19, v20, v13
	v_sub_f16_e32 v20, v5, v14
	;; [unrolled: 1-line block ×4, first 2 shown]
	v_pack_b32_f16 v6, v15, v35
	v_pack_b32_f16 v7, v16, v40
	;; [unrolled: 1-line block ×6, first 2 shown]
	ds_write2_b32 v33, v6, v7 offset1:11
	ds_write2_b32 v33, v13, v5 offset0:22 offset1:33
	ds_write2_b32 v33, v14, v41 offset0:44 offset1:55
	s_waitcnt lgkmcnt(0)
	s_barrier
	buffer_gl0_inv
	s_and_saveexec_b32 s1, s0
	s_cbranch_execz .LBB0_9
; %bb.8:
	ds_read2_b32 v[15:16], v27 offset1:66
	ds_read2_b32 v[17:18], v27 offset0:132 offset1:198
	ds_read2_b32 v[19:20], v4 offset0:8 offset1:74
	ds_read_b32 v11, v27 offset:1584
	s_waitcnt lgkmcnt(3)
	v_lshrrev_b32_e32 v35, 16, v15
	v_lshrrev_b32_e32 v40, 16, v16
	s_waitcnt lgkmcnt(2)
	v_lshrrev_b32_e32 v39, 16, v17
	v_lshrrev_b32_e32 v36, 16, v18
	;; [unrolled: 3-line block ×3, first 2 shown]
	s_waitcnt lgkmcnt(0)
	v_lshrrev_b32_e32 v34, 16, v11
.LBB0_9:
	s_or_b32 exec_lo, exec_lo, s1
	v_add_nc_u32_e32 v4, 0xffffffbe, v22
	v_cndmask_b32_e64 v4, v4, v22, s0
	v_mul_i32_i24_e32 v5, 24, v4
	v_mul_hi_i32_i24_e32 v4, 24, v4
	v_add_co_u32 v13, s1, s2, v5
	v_add_co_ci_u32_e64 v14, s1, s3, v4, s1
	s_clause 0x1
	global_load_dwordx4 v[4:7], v[13:14], off offset:220
	global_load_dwordx2 v[13:14], v[13:14], off offset:236
	s_waitcnt vmcnt(1)
	v_mul_f16_sdwa v41, v40, v4 dst_sel:DWORD dst_unused:UNUSED_PAD src0_sel:DWORD src1_sel:WORD_1
	v_mul_f16_sdwa v42, v16, v4 dst_sel:DWORD dst_unused:UNUSED_PAD src0_sel:DWORD src1_sel:WORD_1
	;; [unrolled: 1-line block ×4, first 2 shown]
	s_waitcnt vmcnt(0)
	v_mul_f16_sdwa v49, v37, v13 dst_sel:DWORD dst_unused:UNUSED_PAD src0_sel:DWORD src1_sel:WORD_1
	v_mul_f16_sdwa v50, v20, v13 dst_sel:DWORD dst_unused:UNUSED_PAD src0_sel:DWORD src1_sel:WORD_1
	v_mul_f16_sdwa v51, v34, v14 dst_sel:DWORD dst_unused:UNUSED_PAD src0_sel:DWORD src1_sel:WORD_1
	v_mul_f16_sdwa v52, v11, v14 dst_sel:DWORD dst_unused:UNUSED_PAD src0_sel:DWORD src1_sel:WORD_1
	v_mul_f16_sdwa v45, v36, v6 dst_sel:DWORD dst_unused:UNUSED_PAD src0_sel:DWORD src1_sel:WORD_1
	v_mul_f16_sdwa v46, v18, v6 dst_sel:DWORD dst_unused:UNUSED_PAD src0_sel:DWORD src1_sel:WORD_1
	v_mul_f16_sdwa v47, v38, v7 dst_sel:DWORD dst_unused:UNUSED_PAD src0_sel:DWORD src1_sel:WORD_1
	v_mul_f16_sdwa v48, v19, v7 dst_sel:DWORD dst_unused:UNUSED_PAD src0_sel:DWORD src1_sel:WORD_1
	v_fma_f16 v16, v16, v4, -v41
	v_fmac_f16_e32 v42, v40, v4
	v_fma_f16 v17, v17, v5, -v43
	v_fmac_f16_e32 v44, v39, v5
	;; [unrolled: 2-line block ×6, first 2 shown]
	v_add_f16_e32 v34, v16, v11
	v_add_f16_e32 v36, v42, v52
	;; [unrolled: 1-line block ×4, first 2 shown]
	v_sub_f16_e32 v11, v16, v11
	v_sub_f16_e32 v16, v42, v52
	;; [unrolled: 1-line block ×4, first 2 shown]
	v_add_f16_e32 v39, v18, v19
	v_add_f16_e32 v40, v46, v48
	v_sub_f16_e32 v18, v19, v18
	v_sub_f16_e32 v19, v48, v46
	v_add_f16_e32 v41, v37, v34
	v_add_f16_e32 v42, v38, v36
	v_sub_f16_e32 v43, v37, v34
	v_sub_f16_e32 v44, v38, v36
	;; [unrolled: 1-line block ×6, first 2 shown]
	v_add_f16_e32 v45, v18, v17
	v_add_f16_e32 v46, v19, v20
	v_sub_f16_e32 v47, v18, v17
	v_sub_f16_e32 v48, v19, v20
	;; [unrolled: 1-line block ×4, first 2 shown]
	v_add_f16_e32 v39, v39, v41
	v_add_f16_e32 v40, v40, v42
	v_sub_f16_e32 v18, v11, v18
	v_sub_f16_e32 v19, v16, v19
	v_add_f16_e32 v11, v45, v11
	v_add_f16_e32 v16, v46, v16
	v_mul_f16_e32 v41, 0x3a52, v34
	v_mul_f16_e32 v36, 0x3a52, v36
	;; [unrolled: 1-line block ×8, first 2 shown]
	v_add_f16_e32 v15, v15, v39
	v_add_f16_e32 v34, v35, v40
	v_fmamk_f16 v35, v37, 0x2b26, v41
	v_fmamk_f16 v37, v38, 0x2b26, v36
	v_fma_f16 v38, v43, 0x39e0, -v42
	v_fma_f16 v42, v44, 0x39e0, -v45
	;; [unrolled: 1-line block ×4, first 2 shown]
	v_fmamk_f16 v43, v18, 0x3574, v46
	v_fmamk_f16 v44, v19, 0x3574, v47
	v_fma_f16 v45, v17, 0x3b00, -v46
	v_fma_f16 v17, v20, 0x3b00, -v47
	;; [unrolled: 1-line block ×4, first 2 shown]
	v_fmamk_f16 v19, v39, 0xbcab, v15
	v_fmamk_f16 v20, v40, 0xbcab, v34
	v_fmac_f16_e32 v43, 0x370e, v11
	v_fmac_f16_e32 v44, 0x370e, v16
	;; [unrolled: 1-line block ×6, first 2 shown]
	v_add_f16_e32 v11, v35, v19
	v_add_f16_e32 v35, v37, v20
	;; [unrolled: 1-line block ×7, first 2 shown]
	v_sub_f16_e32 v42, v35, v43
	v_add_f16_e32 v19, v18, v38
	v_sub_f16_e32 v41, v36, v46
	v_sub_f16_e32 v20, v37, v17
	v_add_f16_e32 v40, v45, v39
	v_add_f16_e32 v17, v17, v37
	v_sub_f16_e32 v39, v39, v45
	v_sub_f16_e32 v18, v38, v18
	v_add_f16_e32 v38, v46, v36
	v_sub_f16_e32 v11, v11, v44
	v_add_f16_e32 v37, v43, v35
	s_and_saveexec_b32 s1, s0
	s_cbranch_execz .LBB0_11
; %bb.10:
	v_lshl_add_u32 v35, v24, 2, v21
	v_perm_b32 v36, v34, v15, 0x5040100
	v_perm_b32 v43, v42, v16, 0x5040100
	;; [unrolled: 1-line block ×6, first 2 shown]
	v_add_nc_u32_e32 v48, 0x400, v35
	v_perm_b32 v49, v37, v11, 0x5040100
	ds_write2_b32 v35, v36, v43 offset1:66
	ds_write2_b32 v35, v44, v45 offset0:132 offset1:198
	ds_write2_b32 v48, v46, v47 offset0:8 offset1:74
	ds_write_b32 v35, v49 offset:1584
.LBB0_11:
	s_or_b32 exec_lo, exec_lo, s1
	s_waitcnt lgkmcnt(0)
	s_barrier
	buffer_gl0_inv
	s_and_saveexec_b32 s1, vcc_lo
	s_cbranch_execz .LBB0_13
; %bb.12:
	global_load_dword v35, v21, s[20:21] offset:1848
	s_add_u32 s2, s20, 0x738
	s_addc_u32 s3, s21, 0
	s_clause 0x9
	global_load_dword v51, v21, s[2:3] offset:168
	global_load_dword v52, v21, s[2:3] offset:336
	;; [unrolled: 1-line block ×10, first 2 shown]
	v_lshl_add_u32 v36, v22, 2, v23
	v_add_nc_u32_e32 v61, v23, v21
	ds_read_b32 v43, v36
	v_add_nc_u32_e32 v62, 0x400, v61
	s_waitcnt lgkmcnt(0)
	v_lshrrev_b32_e32 v44, 16, v43
	s_waitcnt vmcnt(10)
	v_mul_f16_sdwa v45, v44, v35 dst_sel:DWORD dst_unused:UNUSED_PAD src0_sel:DWORD src1_sel:WORD_1
	v_mul_f16_sdwa v46, v43, v35 dst_sel:DWORD dst_unused:UNUSED_PAD src0_sel:DWORD src1_sel:WORD_1
	v_fma_f16 v43, v43, v35, -v45
	v_fmac_f16_e32 v46, v44, v35
	v_pack_b32_f16 v35, v43, v46
	ds_write_b32 v36, v35
	ds_read2_b32 v[35:36], v61 offset0:42 offset1:84
	ds_read2_b32 v[43:44], v61 offset0:126 offset1:168
	;; [unrolled: 1-line block ×5, first 2 shown]
	s_waitcnt lgkmcnt(2)
	v_lshrrev_b32_e32 v71, 16, v45
	v_lshrrev_b32_e32 v63, 16, v35
	s_waitcnt vmcnt(9)
	v_mul_f16_sdwa v64, v35, v51 dst_sel:DWORD dst_unused:UNUSED_PAD src0_sel:DWORD src1_sel:WORD_1
	v_lshrrev_b32_e32 v65, 16, v36
	s_waitcnt vmcnt(8)
	v_mul_f16_sdwa v66, v36, v52 dst_sel:DWORD dst_unused:UNUSED_PAD src0_sel:DWORD src1_sel:WORD_1
	;; [unrolled: 3-line block ×4, first 2 shown]
	s_waitcnt vmcnt(5)
	v_mul_f16_sdwa v72, v45, v55 dst_sel:DWORD dst_unused:UNUSED_PAD src0_sel:DWORD src1_sel:WORD_1
	v_lshrrev_b32_e32 v73, 16, v46
	s_waitcnt vmcnt(4)
	v_mul_f16_sdwa v74, v46, v56 dst_sel:DWORD dst_unused:UNUSED_PAD src0_sel:DWORD src1_sel:WORD_1
	s_waitcnt lgkmcnt(1)
	v_lshrrev_b32_e32 v75, 16, v47
	s_waitcnt vmcnt(3)
	v_mul_f16_sdwa v76, v47, v57 dst_sel:DWORD dst_unused:UNUSED_PAD src0_sel:DWORD src1_sel:WORD_1
	v_lshrrev_b32_e32 v77, 16, v48
	s_waitcnt vmcnt(2)
	v_mul_f16_sdwa v78, v48, v58 dst_sel:DWORD dst_unused:UNUSED_PAD src0_sel:DWORD src1_sel:WORD_1
	s_waitcnt lgkmcnt(0)
	v_lshrrev_b32_e32 v79, 16, v49
	s_waitcnt vmcnt(1)
	v_mul_f16_sdwa v80, v49, v59 dst_sel:DWORD dst_unused:UNUSED_PAD src0_sel:DWORD src1_sel:WORD_1
	v_lshrrev_b32_e32 v81, 16, v50
	v_mul_f16_sdwa v83, v63, v51 dst_sel:DWORD dst_unused:UNUSED_PAD src0_sel:DWORD src1_sel:WORD_1
	v_fmac_f16_e32 v64, v63, v51
	v_mul_f16_sdwa v63, v65, v52 dst_sel:DWORD dst_unused:UNUSED_PAD src0_sel:DWORD src1_sel:WORD_1
	v_fmac_f16_e32 v66, v65, v52
	v_mul_f16_sdwa v65, v67, v53 dst_sel:DWORD dst_unused:UNUSED_PAD src0_sel:DWORD src1_sel:WORD_1
	v_fmac_f16_e32 v68, v67, v53
	v_mul_f16_sdwa v67, v69, v54 dst_sel:DWORD dst_unused:UNUSED_PAD src0_sel:DWORD src1_sel:WORD_1
	v_fmac_f16_e32 v70, v69, v54
	v_mul_f16_sdwa v69, v71, v55 dst_sel:DWORD dst_unused:UNUSED_PAD src0_sel:DWORD src1_sel:WORD_1
	v_fmac_f16_e32 v72, v71, v55
	v_mul_f16_sdwa v71, v73, v56 dst_sel:DWORD dst_unused:UNUSED_PAD src0_sel:DWORD src1_sel:WORD_1
	v_fmac_f16_e32 v74, v73, v56
	v_mul_f16_sdwa v73, v75, v57 dst_sel:DWORD dst_unused:UNUSED_PAD src0_sel:DWORD src1_sel:WORD_1
	v_fmac_f16_e32 v76, v75, v57
	v_mul_f16_sdwa v75, v77, v58 dst_sel:DWORD dst_unused:UNUSED_PAD src0_sel:DWORD src1_sel:WORD_1
	s_waitcnt vmcnt(0)
	v_mul_f16_sdwa v82, v50, v60 dst_sel:DWORD dst_unused:UNUSED_PAD src0_sel:DWORD src1_sel:WORD_1
	v_fmac_f16_e32 v78, v77, v58
	v_mul_f16_sdwa v77, v79, v59 dst_sel:DWORD dst_unused:UNUSED_PAD src0_sel:DWORD src1_sel:WORD_1
	v_fmac_f16_e32 v80, v79, v59
	v_mul_f16_sdwa v79, v81, v60 dst_sel:DWORD dst_unused:UNUSED_PAD src0_sel:DWORD src1_sel:WORD_1
	v_fma_f16 v35, v35, v51, -v83
	v_fma_f16 v36, v36, v52, -v63
	;; [unrolled: 1-line block ×8, first 2 shown]
	v_fmac_f16_e32 v82, v81, v60
	v_fma_f16 v49, v49, v59, -v77
	v_fma_f16 v50, v50, v60, -v79
	v_pack_b32_f16 v35, v35, v64
	v_pack_b32_f16 v36, v36, v66
	;; [unrolled: 1-line block ×10, first 2 shown]
	ds_write2_b32 v61, v35, v36 offset0:42 offset1:84
	ds_write2_b32 v61, v43, v44 offset0:126 offset1:168
	;; [unrolled: 1-line block ×5, first 2 shown]
.LBB0_13:
	s_or_b32 exec_lo, exec_lo, s1
	s_waitcnt lgkmcnt(0)
	s_barrier
	buffer_gl0_inv
	s_and_saveexec_b32 s1, vcc_lo
	s_cbranch_execz .LBB0_15
; %bb.14:
	v_lshl_add_u32 v26, v24, 2, v21
	v_add_nc_u32_e32 v9, 0x200, v26
	v_add_nc_u32_e32 v10, 0x400, v26
	ds_read2_b32 v[15:16], v26 offset1:42
	ds_read2_b32 v[19:20], v26 offset0:84 offset1:126
	ds_read2_b32 v[17:18], v26 offset0:168 offset1:210
	;; [unrolled: 1-line block ×4, first 2 shown]
	ds_read_b32 v26, v26 offset:1680
	s_waitcnt lgkmcnt(3)
	v_lshrrev_b32_e32 v39, 16, v17
	v_lshrrev_b32_e32 v34, 16, v15
	;; [unrolled: 1-line block ×6, first 2 shown]
	s_waitcnt lgkmcnt(2)
	v_lshrrev_b32_e32 v37, 16, v11
	v_lshrrev_b32_e32 v31, 16, v12
	s_waitcnt lgkmcnt(1)
	v_lshrrev_b32_e32 v29, 16, v9
	v_lshrrev_b32_e32 v28, 16, v10
	s_waitcnt lgkmcnt(0)
	v_lshrrev_b32_e32 v30, 16, v26
.LBB0_15:
	s_or_b32 exec_lo, exec_lo, s1
	v_sub_f16_e32 v53, v42, v30
	v_add_f16_e32 v62, v30, v42
	v_add_f16_e32 v43, v26, v16
	v_sub_f16_e32 v46, v16, v26
	v_sub_f16_e32 v54, v41, v28
	v_mul_f16_e32 v63, 0xb482, v53
	v_mul_f16_e32 v66, 0xbbad, v62
	v_add_f16_e32 v59, v28, v41
	v_add_f16_e32 v44, v10, v19
	v_mul_f16_e32 v64, 0x3853, v54
	v_fma_f16 v35, v43, 0xbbad, -v63
	v_fmamk_f16 v36, v46, 0xb482, v66
	v_sub_f16_e32 v45, v19, v10
	v_mul_f16_e32 v68, 0x3abb, v59
	v_sub_f16_e32 v55, v40, v29
	v_add_f16_e32 v35, v15, v35
	v_add_f16_e32 v36, v34, v36
	v_fma_f16 v49, v44, 0x3abb, -v64
	v_add_f16_e32 v58, v29, v40
	v_fmamk_f16 v50, v45, 0x3853, v68
	v_add_f16_e32 v47, v9, v20
	v_mul_f16_e32 v65, 0xba0c, v55
	v_sub_f16_e32 v48, v20, v9
	v_mul_f16_e32 v70, 0xb93d, v58
	v_add_f16_e32 v35, v49, v35
	v_add_f16_e32 v36, v50, v36
	v_sub_f16_e32 v56, v39, v31
	v_fma_f16 v50, v47, 0xb93d, -v65
	v_add_f16_e32 v60, v31, v39
	v_fmamk_f16 v51, v48, 0xba0c, v70
	v_add_f16_e32 v49, v12, v17
	v_mul_f16_e32 v67, 0x3b47, v56
	v_add_f16_e32 v35, v50, v35
	v_sub_f16_e32 v50, v17, v12
	v_mul_f16_e32 v71, 0x36a6, v60
	v_sub_f16_e32 v57, v38, v37
	v_add_f16_e32 v61, v37, v38
	v_add_f16_e32 v36, v51, v36
	v_fma_f16 v73, v49, 0x36a6, -v67
	v_fmamk_f16 v74, v50, 0x3b47, v71
	v_add_f16_e32 v51, v11, v18
	v_sub_f16_e32 v52, v18, v11
	v_mul_f16_e32 v69, 0xbbeb, v57
	v_mul_f16_e32 v72, 0xb08e, v61
	v_add_f16_e32 v35, v73, v35
	v_add_f16_e32 v36, v74, v36
	v_fma_f16 v73, v51, 0xb08e, -v69
	v_fmamk_f16 v74, v52, 0xbbeb, v72
	s_barrier
	buffer_gl0_inv
	v_add_f16_e32 v35, v73, v35
	v_add_f16_e32 v36, v74, v36
	s_and_saveexec_b32 s1, vcc_lo
	s_cbranch_execz .LBB0_17
; %bb.16:
	v_mul_f16_e32 v73, 0xb482, v46
	v_mul_f16_e32 v74, 0xbbad, v43
	;; [unrolled: 1-line block ×5, first 2 shown]
	v_sub_f16_e32 v66, v66, v73
	v_mul_f16_e32 v73, 0xba0c, v48
	v_sub_f16_e32 v68, v68, v76
	v_add_f16_e32 v63, v74, v63
	v_mul_f16_e32 v79, 0x3b47, v50
	v_add_f16_e32 v66, v34, v66
	v_sub_f16_e32 v70, v70, v73
	v_add_f16_e32 v64, v75, v64
	v_add_f16_e32 v63, v15, v63
	v_mul_f16_e32 v78, 0x36a6, v49
	v_add_f16_e32 v66, v68, v66
	v_mul_f16_e32 v68, 0xb93d, v62
	v_mul_f16_e32 v80, 0xbbeb, v52
	v_sub_f16_e32 v71, v71, v79
	v_add_f16_e32 v65, v77, v65
	v_add_f16_e32 v66, v70, v66
	v_mul_f16_e32 v70, 0xb08e, v59
	v_fmamk_f16 v73, v46, 0x3a0c, v68
	v_add_f16_e32 v63, v64, v63
	v_mul_f16_e32 v76, 0xb08e, v51
	v_add_f16_e32 v64, v71, v66
	v_sub_f16_e32 v66, v72, v80
	v_add_f16_e32 v71, v34, v73
	v_fmamk_f16 v72, v45, 0xbbeb, v70
	v_mul_f16_e32 v73, 0x3abb, v58
	v_add_f16_e32 v63, v65, v63
	v_add_f16_e32 v65, v78, v67
	;; [unrolled: 1-line block ×4, first 2 shown]
	v_fmamk_f16 v67, v48, 0x3853, v73
	v_mul_f16_e32 v71, 0xbbad, v60
	v_add_f16_e32 v63, v65, v63
	v_add_f16_e32 v65, v76, v69
	v_mul_f16_e32 v69, 0xba0c, v53
	v_add_f16_e32 v66, v67, v66
	v_fmamk_f16 v67, v50, 0x3482, v71
	v_mul_f16_e32 v72, 0x36a6, v61
	v_add_f16_e32 v63, v65, v63
	v_fmamk_f16 v65, v43, 0xb93d, v69
	;; [unrolled: 3-line block ×22, first 2 shown]
	v_mul_f16_e32 v98, 0xba0c, v54
	v_add_f16_e32 v16, v16, v15
	v_add_f16_e32 v80, v92, v80
	v_fmamk_f16 v92, v52, 0xb853, v97
	v_add_f16_e32 v88, v15, v88
	v_fmamk_f16 v99, v44, 0xb93d, v98
	v_mul_f16_e32 v100, 0x3482, v55
	v_add_f16_e32 v16, v19, v16
	v_add_f16_e32 v80, v92, v80
	v_mul_f16_e32 v101, 0x3853, v57
	v_add_f16_e32 v88, v99, v88
	v_fmamk_f16 v92, v47, 0xbbad, v100
	v_add_f16_e32 v16, v20, v16
	v_mul_f16_e32 v20, 0x3beb, v56
	v_mul_f16_e32 v53, 0xb853, v53
	v_add_f16_e32 v42, v42, v34
	v_add_f16_e32 v88, v92, v88
	v_mul_f16_e32 v54, 0xbb47, v54
	v_fmamk_f16 v92, v49, 0xb08e, v20
	v_add_f16_e32 v16, v17, v16
	v_add_f16_e32 v41, v41, v42
	v_mul_f16_e32 v42, 0xbbad, v61
	v_fmac_f16_e32 v68, 0xba0c, v46
	v_add_f16_e32 v88, v92, v88
	v_fmamk_f16 v92, v51, 0x3abb, v101
	v_add_f16_e32 v17, v40, v41
	v_mul_f16_e32 v40, 0xbbeb, v55
	v_add_f16_e32 v16, v18, v16
	v_fmac_f16_e32 v70, 0x3beb, v45
	v_add_f16_e32 v88, v92, v88
	v_fmamk_f16 v92, v43, 0x3abb, v53
	v_add_f16_e32 v17, v39, v17
	v_fmamk_f16 v18, v47, 0xb08e, v40
	v_mul_f16_e32 v39, 0xba0c, v56
	v_add_f16_e32 v11, v11, v16
	v_add_f16_e32 v61, v15, v92
	v_fmamk_f16 v92, v44, 0x36a6, v54
	v_add_f16_e32 v16, v38, v17
	v_mul_f16_e32 v38, 0xb482, v57
	v_add_f16_e32 v11, v12, v11
	v_fmac_f16_e32 v75, 0xbbeb, v46
	v_add_f16_e32 v55, v92, v61
	v_add_f16_e32 v12, v37, v16
	v_fmac_f16_e32 v78, 0x3482, v45
	v_add_f16_e32 v9, v9, v11
	v_fmac_f16_e32 v81, 0x3b47, v48
	v_add_f16_e32 v17, v18, v55
	v_fmamk_f16 v18, v49, 0xb93d, v39
	v_add_f16_e32 v11, v31, v12
	v_add_f16_e32 v12, v34, v68
	;; [unrolled: 1-line block ×3, first 2 shown]
	v_fmac_f16_e32 v87, 0xbb47, v46
	v_add_f16_e32 v16, v18, v17
	v_fmamk_f16 v17, v51, 0xbbad, v38
	v_add_f16_e32 v10, v29, v11
	v_add_f16_e32 v11, v70, v12
	;; [unrolled: 1-line block ×5, first 2 shown]
	v_fma_f16 v17, v43, 0xb93d, -v69
	v_fma_f16 v26, v43, 0xb08e, -v84
	v_add_f16_e32 v10, v28, v10
	v_add_f16_e32 v18, v78, v18
	v_fma_f16 v28, v44, 0xbbad, -v86
	v_add_f16_e32 v12, v15, v17
	v_fma_f16 v17, v44, 0xb08e, -v74
	v_add_f16_e32 v26, v15, v26
	v_fmac_f16_e32 v90, 0xba0c, v45
	v_mul_f16_e32 v62, 0x3abb, v62
	v_fmac_f16_e32 v93, 0x3482, v48
	v_add_f16_e32 v12, v17, v12
	v_fma_f16 v17, v47, 0x3abb, -v77
	v_mul_f16_e32 v59, 0x36a6, v59
	v_fmamk_f16 v19, v46, 0x3853, v62
	v_fma_f16 v29, v43, 0x36a6, -v96
	v_fmac_f16_e32 v95, 0x3beb, v50
	v_add_f16_e32 v12, v17, v12
	v_fma_f16 v17, v49, 0xbbad, -v79
	v_add_f16_e32 v19, v34, v19
	v_fmamk_f16 v99, v45, 0x3b47, v59
	v_mul_f16_e32 v58, 0xb08e, v58
	v_add_f16_e32 v10, v30, v10
	v_add_f16_e32 v12, v17, v12
	v_fma_f16 v17, v51, 0x36a6, -v82
	v_add_f16_e32 v29, v15, v29
	v_fma_f16 v30, v44, 0xb93d, -v98
	v_fmac_f16_e32 v62, 0xb853, v46
	v_add_f16_e32 v19, v99, v19
	v_add_f16_e32 v12, v17, v12
	;; [unrolled: 1-line block ×4, first 2 shown]
	v_fma_f16 v26, v47, 0x36a6, -v89
	v_add_f16_e32 v28, v34, v87
	v_fmamk_f16 v99, v48, 0x3beb, v58
	v_mul_f16_e32 v60, 0xb93d, v60
	v_add_f16_e32 v29, v30, v29
	v_add_f16_e32 v18, v26, v18
	v_fma_f16 v26, v49, 0x3abb, -v91
	v_add_f16_e32 v28, v90, v28
	v_fma_f16 v30, v47, 0xbbad, -v100
	v_add_f16_e32 v31, v34, v62
	v_fmac_f16_e32 v59, 0xbb47, v45
	v_add_f16_e32 v18, v26, v18
	v_fma_f16 v26, v51, 0xb93d, -v94
	v_add_f16_e32 v28, v93, v28
	v_add_f16_e32 v19, v99, v19
	v_fmamk_f16 v99, v50, 0x3a0c, v60
	v_fmac_f16_e32 v73, 0xb853, v48
	v_add_f16_e32 v18, v26, v18
	v_add_f16_e32 v26, v95, v28
	v_fma_f16 v28, v43, 0x3abb, -v53
	v_add_f16_e32 v29, v30, v29
	v_fma_f16 v20, v49, 0xb08e, -v20
	v_add_f16_e32 v30, v59, v31
	v_fmac_f16_e32 v58, 0xbbeb, v48
	v_add_f16_e32 v15, v15, v28
	v_fma_f16 v28, v44, 0x36a6, -v54
	v_add_f16_e32 v19, v99, v19
	v_fmamk_f16 v41, v52, 0x3482, v42
	v_add_f16_e32 v11, v73, v11
	v_fmac_f16_e32 v71, 0xb482, v50
	v_add_f16_e32 v15, v28, v15
	v_fma_f16 v28, v47, 0xb08e, -v40
	v_fmac_f16_e32 v83, 0xb853, v50
	v_add_f16_e32 v20, v20, v29
	v_add_f16_e32 v29, v58, v30
	v_fmac_f16_e32 v60, 0xba0c, v50
	v_add_f16_e32 v15, v28, v15
	v_fma_f16 v28, v49, 0xb93d, -v39
	v_add_f16_e32 v19, v41, v19
	v_and_b32_e32 v25, 0xffff, v25
	v_add_f16_e32 v11, v71, v11
	v_fmac_f16_e32 v72, 0x3b47, v52
	v_add_f16_e32 v17, v83, v17
	v_fmac_f16_e32 v85, 0xba0c, v52
	v_fmac_f16_e32 v97, 0x3853, v52
	v_fma_f16 v30, v51, 0x3abb, -v101
	v_add_f16_e32 v29, v60, v29
	v_fmac_f16_e32 v42, 0xb482, v52
	v_add_f16_e32 v15, v28, v15
	v_fma_f16 v28, v51, 0xbbad, -v38
	v_add_lshl_u32 v25, v24, v25, 2
	v_pack_b32_f16 v16, v16, v19
	v_pack_b32_f16 v9, v9, v10
	v_add_f16_e32 v11, v72, v11
	v_add_f16_e32 v17, v85, v17
	;; [unrolled: 1-line block ×6, first 2 shown]
	ds_write2_b32 v25, v9, v16 offset1:1
	v_pack_b32_f16 v9, v76, v67
	v_pack_b32_f16 v16, v88, v80
	;; [unrolled: 1-line block ×5, first 2 shown]
	v_perm_b32 v12, v36, v35, 0x5040100
	v_pack_b32_f16 v10, v19, v10
	v_pack_b32_f16 v17, v18, v17
	;; [unrolled: 1-line block ×3, first 2 shown]
	ds_write2_b32 v25, v16, v9 offset0:2 offset1:3
	ds_write2_b32 v25, v28, v26 offset0:4 offset1:5
	;; [unrolled: 1-line block ×4, first 2 shown]
	ds_write_b32 v25, v15 offset:40
.LBB0_17:
	s_or_b32 exec_lo, exec_lo, s1
	v_add_nc_u32_e32 v11, 0x400, v27
	s_waitcnt lgkmcnt(0)
	s_barrier
	buffer_gl0_inv
	ds_read2_b32 v[16:17], v27 offset1:77
	ds_read2_b32 v[9:10], v27 offset0:154 offset1:231
	ds_read2_b32 v[18:19], v11 offset0:52 offset1:129
	s_waitcnt lgkmcnt(0)
	s_barrier
	buffer_gl0_inv
	v_lshrrev_b32_e32 v12, 16, v17
	v_lshrrev_b32_e32 v15, 16, v9
	;; [unrolled: 1-line block ×3, first 2 shown]
	v_mul_f16_sdwa v26, v0, v17 dst_sel:DWORD dst_unused:UNUSED_PAD src0_sel:WORD_1 src1_sel:DWORD
	v_mul_f16_sdwa v28, v1, v9 dst_sel:DWORD dst_unused:UNUSED_PAD src0_sel:WORD_1 src1_sel:DWORD
	;; [unrolled: 1-line block ×3, first 2 shown]
	v_lshrrev_b32_e32 v30, 16, v18
	v_mul_f16_sdwa v34, v0, v12 dst_sel:DWORD dst_unused:UNUSED_PAD src0_sel:WORD_1 src1_sel:DWORD
	v_lshrrev_b32_e32 v20, 16, v16
	v_lshrrev_b32_e32 v31, 16, v19
	v_fma_f16 v12, v0, v12, -v26
	v_mul_f16_sdwa v26, v1, v15 dst_sel:DWORD dst_unused:UNUSED_PAD src0_sel:WORD_1 src1_sel:DWORD
	v_fma_f16 v15, v1, v15, -v28
	v_mul_f16_sdwa v28, v2, v25 dst_sel:DWORD dst_unused:UNUSED_PAD src0_sel:WORD_1 src1_sel:DWORD
	;; [unrolled: 2-line block ×3, first 2 shown]
	v_mul_f16_sdwa v37, v32, v19 dst_sel:DWORD dst_unused:UNUSED_PAD src0_sel:WORD_1 src1_sel:DWORD
	v_fmac_f16_e32 v34, v0, v17
	v_mul_f16_sdwa v0, v3, v30 dst_sel:DWORD dst_unused:UNUSED_PAD src0_sel:WORD_1 src1_sel:DWORD
	v_fmac_f16_e32 v26, v1, v9
	v_fmac_f16_e32 v28, v2, v10
	v_fma_f16 v1, v3, v30, -v29
	v_mul_f16_sdwa v2, v32, v31 dst_sel:DWORD dst_unused:UNUSED_PAD src0_sel:WORD_1 src1_sel:DWORD
	v_fma_f16 v9, v32, v31, -v37
	v_add_f16_e32 v10, v20, v15
	v_fmac_f16_e32 v0, v3, v18
	v_add_f16_e32 v3, v16, v26
	v_fmac_f16_e32 v2, v32, v19
	v_sub_f16_e32 v18, v15, v1
	v_add_f16_e32 v15, v15, v1
	v_add_f16_e32 v19, v10, v1
	;; [unrolled: 1-line block ×6, first 2 shown]
	v_fmac_f16_e32 v20, -0.5, v15
	v_sub_f16_e32 v0, v26, v0
	v_fmac_f16_e32 v16, -0.5, v1
	v_add_f16_e32 v1, v28, v2
	v_fmac_f16_e32 v12, -0.5, v10
	v_sub_f16_e32 v10, v28, v2
	v_fmamk_f16 v26, v0, 0x3aee, v20
	v_add_f16_e32 v15, v34, v28
	v_fmac_f16_e32 v34, -0.5, v1
	v_sub_f16_e32 v1, v25, v9
	v_fmac_f16_e32 v20, 0xbaee, v0
	v_fmamk_f16 v0, v10, 0x3aee, v12
	v_fmac_f16_e32 v12, 0xbaee, v10
	v_fmamk_f16 v29, v18, 0xbaee, v16
	v_fmac_f16_e32 v16, 0x3aee, v18
	v_add_f16_e32 v10, v15, v2
	v_fmamk_f16 v2, v1, 0xbaee, v34
	v_mul_f16_e32 v18, 0xbaee, v0
	v_mul_f16_e32 v30, 0.5, v0
	v_fmac_f16_e32 v34, 0x3aee, v1
	v_mul_f16_e32 v25, 0xbaee, v12
	v_mul_f16_e32 v31, -0.5, v12
	v_add_f16_e32 v28, v17, v9
	v_fmac_f16_e32 v18, 0.5, v2
	v_fmac_f16_e32 v30, 0x3aee, v2
	v_fmac_f16_e32 v25, -0.5, v34
	v_fmac_f16_e32 v31, 0x3aee, v34
	v_add_f16_e32 v0, v3, v10
	v_add_f16_e32 v1, v29, v18
	;; [unrolled: 1-line block ×6, first 2 shown]
	v_sub_f16_e32 v3, v3, v10
	v_sub_f16_e32 v10, v16, v25
	;; [unrolled: 1-line block ×6, first 2 shown]
	v_pack_b32_f16 v20, v0, v12
	v_pack_b32_f16 v25, v1, v17
	;; [unrolled: 1-line block ×6, first 2 shown]
	ds_write2_b32 v33, v20, v25 offset1:11
	ds_write2_b32 v33, v26, v28 offset0:22 offset1:33
	ds_write2_b32 v33, v29, v30 offset0:44 offset1:55
	s_waitcnt lgkmcnt(0)
	s_barrier
	buffer_gl0_inv
	s_and_saveexec_b32 s1, s0
	s_cbranch_execz .LBB0_19
; %bb.18:
	ds_read2_b32 v[0:1], v27 offset1:66
	ds_read2_b32 v[2:3], v27 offset0:132 offset1:198
	ds_read2_b32 v[9:10], v11 offset0:8 offset1:74
	ds_read_b32 v35, v27 offset:1584
	s_waitcnt lgkmcnt(3)
	v_lshrrev_b32_e32 v12, 16, v0
	v_lshrrev_b32_e32 v17, 16, v1
	s_waitcnt lgkmcnt(2)
	v_lshrrev_b32_e32 v15, 16, v2
	v_lshrrev_b32_e32 v16, 16, v3
	;; [unrolled: 3-line block ×3, first 2 shown]
	s_waitcnt lgkmcnt(0)
	v_lshrrev_b32_e32 v36, 16, v35
.LBB0_19:
	s_or_b32 exec_lo, exec_lo, s1
	s_and_saveexec_b32 s1, s0
	s_cbranch_execz .LBB0_21
; %bb.20:
	v_mul_f16_sdwa v11, v4, v17 dst_sel:DWORD dst_unused:UNUSED_PAD src0_sel:WORD_1 src1_sel:DWORD
	v_mul_f16_sdwa v26, v5, v15 dst_sel:DWORD dst_unused:UNUSED_PAD src0_sel:WORD_1 src1_sel:DWORD
	;; [unrolled: 1-line block ×5, first 2 shown]
	v_fmac_f16_e32 v11, v4, v1
	v_mul_f16_sdwa v1, v4, v1 dst_sel:DWORD dst_unused:UNUSED_PAD src0_sel:WORD_1 src1_sel:DWORD
	v_mul_f16_sdwa v28, v14, v36 dst_sel:DWORD dst_unused:UNUSED_PAD src0_sel:WORD_1 src1_sel:DWORD
	v_fmac_f16_e32 v26, v5, v2
	v_fmac_f16_e32 v27, v13, v10
	v_mul_f16_sdwa v31, v14, v35 dst_sel:DWORD dst_unused:UNUSED_PAD src0_sel:WORD_1 src1_sel:DWORD
	v_mul_f16_sdwa v10, v13, v10 dst_sel:DWORD dst_unused:UNUSED_PAD src0_sel:WORD_1 src1_sel:DWORD
	;; [unrolled: 1-line block ×3, first 2 shown]
	v_fmac_f16_e32 v25, v6, v3
	v_fma_f16 v1, v4, v17, -v1
	v_mul_f16_sdwa v3, v6, v3 dst_sel:DWORD dst_unused:UNUSED_PAD src0_sel:WORD_1 src1_sel:DWORD
	v_mul_f16_sdwa v4, v7, v9 dst_sel:DWORD dst_unused:UNUSED_PAD src0_sel:WORD_1 src1_sel:DWORD
	v_fmac_f16_e32 v20, v7, v9
	v_fmac_f16_e32 v28, v14, v35
	v_fma_f16 v14, v14, v36, -v31
	v_fma_f16 v9, v13, v19, -v10
	;; [unrolled: 1-line block ×5, first 2 shown]
	v_sub_f16_e32 v32, v11, v28
	v_add_f16_e32 v10, v14, v1
	v_add_f16_e32 v6, v9, v2
	;; [unrolled: 1-line block ×6, first 2 shown]
	v_sub_f16_e32 v29, v20, v25
	v_sub_f16_e32 v30, v26, v27
	v_add_f16_e32 v15, v6, v10
	v_add_f16_e32 v19, v17, v11
	v_sub_f16_e32 v3, v4, v3
	v_sub_f16_e32 v2, v2, v9
	;; [unrolled: 1-line block ×6, first 2 shown]
	v_add_f16_e32 v15, v13, v15
	v_add_f16_e32 v19, v18, v19
	v_sub_f16_e32 v14, v3, v2
	v_sub_f16_e32 v27, v30, v32
	v_sub_f16_e32 v13, v13, v6
	v_mul_f16_e32 v16, 0x3a52, v16
	v_mul_f16_e32 v4, 0x3a52, v25
	v_sub_f16_e32 v9, v18, v17
	v_sub_f16_e32 v25, v1, v3
	v_add_f16_e32 v3, v3, v2
	v_sub_f16_e32 v6, v6, v10
	v_sub_f16_e32 v2, v2, v1
	;; [unrolled: 1-line block ×3, first 2 shown]
	v_mul_f16_e32 v33, 0x3846, v33
	v_add_f16_e32 v5, v29, v30
	v_add_f16_e32 v12, v12, v15
	;; [unrolled: 1-line block ×3, first 2 shown]
	v_mul_f16_e32 v14, 0x3846, v14
	v_mul_f16_e32 v29, 0xbb00, v27
	;; [unrolled: 1-line block ×3, first 2 shown]
	v_fmamk_f16 v13, v13, 0x2b26, v16
	v_fmamk_f16 v18, v9, 0x2b26, v4
	v_mul_f16_e32 v9, 0x2b26, v9
	v_sub_f16_e32 v10, v17, v11
	v_fma_f16 v11, v6, 0xb9e0, -v16
	v_mul_f16_e32 v16, 0xbb00, v2
	v_fmamk_f16 v7, v31, 0xb574, v33
	v_add_f16_e32 v5, v5, v32
	v_fmamk_f16 v15, v15, 0xbcab, v12
	v_fmamk_f16 v19, v19, 0xbcab, v0
	;; [unrolled: 1-line block ×3, first 2 shown]
	v_add_f16_e32 v1, v3, v1
	v_fma_f16 v3, v31, 0x3574, -v29
	v_fma_f16 v4, v10, 0xb9e0, -v4
	;; [unrolled: 1-line block ×7, first 2 shown]
	v_fmac_f16_e32 v7, 0xb70e, v5
	v_add_f16_e32 v13, v13, v15
	v_add_f16_e32 v18, v18, v19
	v_fmac_f16_e32 v28, 0xb70e, v1
	v_fmac_f16_e32 v3, 0xb70e, v5
	v_add_f16_e32 v11, v11, v15
	v_add_f16_e32 v4, v4, v19
	v_fmac_f16_e32 v16, 0xb70e, v1
	v_add_f16_e32 v6, v6, v15
	v_fmac_f16_e32 v17, 0xb70e, v5
	v_fmac_f16_e32 v2, 0xb70e, v1
	v_add_f16_e32 v1, v9, v19
	v_add_f16_e32 v26, v7, v13
	;; [unrolled: 1-line block ×3, first 2 shown]
	v_sub_f16_e32 v3, v11, v3
	v_sub_f16_e32 v7, v13, v7
	v_add_f16_e32 v11, v28, v18
	v_sub_f16_e32 v10, v4, v16
	v_sub_f16_e32 v14, v6, v17
	v_add_f16_e32 v15, v2, v1
	v_add_f16_e32 v6, v17, v6
	;; [unrolled: 1-line block ×3, first 2 shown]
	v_sub_f16_e32 v1, v1, v2
	v_lshl_add_u32 v2, v24, 2, v21
	v_sub_f16_e32 v5, v18, v28
	v_pack_b32_f16 v0, v0, v12
	v_pack_b32_f16 v7, v11, v7
	;; [unrolled: 1-line block ×6, first 2 shown]
	v_add_nc_u32_e32 v9, 0x400, v2
	v_pack_b32_f16 v5, v5, v26
	ds_write2_b32 v2, v0, v7 offset1:66
	ds_write2_b32 v2, v3, v1 offset0:132 offset1:198
	ds_write2_b32 v9, v4, v6 offset0:8 offset1:74
	ds_write_b32 v2, v5 offset:1584
.LBB0_21:
	s_or_b32 exec_lo, exec_lo, s1
	s_waitcnt lgkmcnt(0)
	s_barrier
	buffer_gl0_inv
	s_and_b32 exec_lo, exec_lo, vcc_lo
	s_cbranch_execz .LBB0_23
; %bb.22:
	s_clause 0x5
	global_load_dword v2, v21, s[20:21]
	global_load_dword v3, v21, s[20:21] offset:168
	global_load_dword v4, v21, s[20:21] offset:336
	;; [unrolled: 1-line block ×5, first 2 shown]
	v_mad_u64_u32 v[11:12], null, s6, v8, 0
	v_mad_u64_u32 v[13:14], null, s4, v22, 0
	v_lshl_add_u32 v0, v22, 2, v23
	v_add_nc_u32_e32 v6, v23, v21
	ds_read_b32 v26, v0
	ds_read2_b32 v[15:16], v6 offset0:42 offset1:84
	v_mov_b32_e32 v7, v12
	v_mov_b32_e32 v9, v14
	ds_read2_b32 v[17:18], v6 offset0:126 offset1:168
	ds_read2_b32 v[0:1], v6 offset0:210 offset1:252
	s_mov_b32 s22, 0x4046ed29
	v_mad_u64_u32 v[19:20], null, s7, v8, v[7:8]
	v_mad_u64_u32 v[22:23], null, s5, v22, v[9:10]
	s_mov_b32 s23, 0x3f61bb4a
	s_mul_i32 s0, s5, 0xa8
	s_mul_hi_u32 s24, s4, 0xa8
	s_mul_i32 s19, s4, 0xa8
	v_mov_b32_e32 v12, v19
	s_add_i32 s24, s24, s0
	v_mov_b32_e32 v14, v22
	s_clause 0x3
	global_load_dword v7, v21, s[20:21] offset:1008
	global_load_dword v8, v21, s[20:21] offset:1176
	;; [unrolled: 1-line block ×4, first 2 shown]
	v_lshlrev_b64 v[11:12], 2, v[11:12]
	s_waitcnt lgkmcnt(3)
	v_lshrrev_b32_e32 v19, 16, v26
	v_lshlrev_b64 v[13:14], 2, v[13:14]
	s_waitcnt lgkmcnt(2)
	v_lshrrev_b32_e32 v20, 16, v15
	v_lshrrev_b32_e32 v22, 16, v16
	s_waitcnt lgkmcnt(1)
	v_lshrrev_b32_e32 v23, 16, v17
	v_add_co_u32 v11, vcc_lo, s12, v11
	v_add_co_ci_u32_e32 v12, vcc_lo, s13, v12, vcc_lo
	v_lshrrev_b32_e32 v27, 16, v18
	v_add_co_u32 v11, vcc_lo, v11, v13
	v_add_co_ci_u32_e32 v12, vcc_lo, v12, v14, vcc_lo
	s_waitcnt lgkmcnt(0)
	v_lshrrev_b32_e32 v28, 16, v0
	s_waitcnt vmcnt(9)
	v_mul_f16_sdwa v13, v19, v2 dst_sel:DWORD dst_unused:UNUSED_PAD src0_sel:DWORD src1_sel:WORD_1
	v_mul_f16_sdwa v14, v26, v2 dst_sel:DWORD dst_unused:UNUSED_PAD src0_sel:DWORD src1_sel:WORD_1
	s_waitcnt vmcnt(8)
	v_mul_f16_sdwa v29, v20, v3 dst_sel:DWORD dst_unused:UNUSED_PAD src0_sel:DWORD src1_sel:WORD_1
	v_mul_f16_sdwa v30, v15, v3 dst_sel:DWORD dst_unused:UNUSED_PAD src0_sel:DWORD src1_sel:WORD_1
	s_waitcnt vmcnt(7)
	v_mul_f16_sdwa v31, v22, v4 dst_sel:DWORD dst_unused:UNUSED_PAD src0_sel:DWORD src1_sel:WORD_1
	v_fmac_f16_e32 v13, v26, v2
	v_mul_f16_sdwa v32, v16, v4 dst_sel:DWORD dst_unused:UNUSED_PAD src0_sel:DWORD src1_sel:WORD_1
	s_waitcnt vmcnt(6)
	v_mul_f16_sdwa v33, v23, v5 dst_sel:DWORD dst_unused:UNUSED_PAD src0_sel:DWORD src1_sel:WORD_1
	v_mul_f16_sdwa v34, v17, v5 dst_sel:DWORD dst_unused:UNUSED_PAD src0_sel:DWORD src1_sel:WORD_1
	v_fma_f16 v2, v2, v19, -v14
	v_fmac_f16_e32 v29, v15, v3
	v_fma_f16 v14, v3, v20, -v30
	v_cvt_f32_f16_e32 v3, v13
	s_waitcnt vmcnt(5)
	v_mul_f16_sdwa v36, v18, v24 dst_sel:DWORD dst_unused:UNUSED_PAD src0_sel:DWORD src1_sel:WORD_1
	v_fmac_f16_e32 v31, v16, v4
	v_fma_f16 v4, v4, v22, -v32
	v_fmac_f16_e32 v33, v17, v5
	v_fma_f16 v15, v5, v23, -v34
	v_cvt_f32_f16_e32 v5, v2
	v_cvt_f64_f32_e32 v[2:3], v3
	s_waitcnt vmcnt(4)
	v_mul_f16_sdwa v37, v28, v25 dst_sel:DWORD dst_unused:UNUSED_PAD src0_sel:DWORD src1_sel:WORD_1
	v_mul_f16_sdwa v38, v0, v25 dst_sel:DWORD dst_unused:UNUSED_PAD src0_sel:DWORD src1_sel:WORD_1
	v_fma_f16 v13, v24, v27, -v36
	v_cvt_f32_f16_e32 v16, v29
	v_cvt_f32_f16_e32 v19, v4
	v_cvt_f64_f32_e32 v[4:5], v5
	v_mul_f16_sdwa v35, v27, v24 dst_sel:DWORD dst_unused:UNUSED_PAD src0_sel:DWORD src1_sel:WORD_1
	v_fmac_f16_e32 v37, v0, v25
	v_fma_f16 v0, v25, v28, -v38
	v_cvt_f32_f16_e32 v17, v14
	v_cvt_f32_f16_e32 v28, v13
	v_cvt_f64_f32_e32 v[13:14], v16
	v_fmac_f16_e32 v35, v18, v24
	v_cvt_f32_f16_e32 v18, v31
	v_cvt_f32_f16_e32 v24, v15
	v_cvt_f64_f32_e32 v[15:16], v17
	v_cvt_f32_f16_e32 v0, v0
	v_cvt_f32_f16_e32 v26, v35
	v_cvt_f64_f32_e32 v[17:18], v18
	v_cvt_f32_f16_e32 v22, v33
	v_cvt_f64_f32_e32 v[19:20], v19
	v_mul_f64 v[34:35], v[2:3], s[22:23]
	v_cvt_f64_f32_e32 v[32:33], v0
	v_cvt_f64_f32_e32 v[24:25], v24
	;; [unrolled: 1-line block ×3, first 2 shown]
	v_add_co_u32 v36, vcc_lo, v11, s19
	v_mul_f64 v[38:39], v[4:5], s[22:23]
	v_cvt_f32_f16_e32 v30, v37
	v_add_co_ci_u32_e32 v37, vcc_lo, s24, v12, vcc_lo
	v_cvt_f64_f32_e32 v[26:27], v26
	v_add_co_u32 v40, vcc_lo, v36, s19
	v_mul_f64 v[13:14], v[13:14], s[22:23]
	v_add_co_ci_u32_e32 v41, vcc_lo, s24, v37, vcc_lo
	v_mul_f64 v[15:16], v[15:16], s[22:23]
	v_cvt_f64_f32_e32 v[28:29], v28
	v_add_co_u32 v42, vcc_lo, v40, s19
	v_mul_f64 v[17:18], v[17:18], s[22:23]
	v_mul_f64 v[19:20], v[19:20], s[22:23]
	v_and_or_b32 v0, 0x1ff, v35, v34
	v_add_co_ci_u32_e32 v43, vcc_lo, s24, v41, vcc_lo
	v_mul_f64 v[2:3], v[32:33], s[22:23]
	v_cvt_f64_f32_e32 v[30:31], v30
	v_cmp_ne_u32_e32 vcc_lo, 0, v0
	v_and_or_b32 v33, 0x1ff, v39, v38
	v_mul_f64 v[22:23], v[22:23], s[22:23]
	v_mul_f64 v[24:25], v[24:25], s[22:23]
	v_lshrrev_b32_e32 v34, 8, v39
	v_cndmask_b32_e64 v0, 0, 1, vcc_lo
	v_cmp_ne_u32_e32 vcc_lo, 0, v33
	v_mul_f64 v[26:27], v[26:27], s[22:23]
	v_and_or_b32 v13, 0x1ff, v14, v13
	v_lshrrev_b32_e32 v32, 16, v35
	v_lshrrev_b32_e32 v38, 16, v39
	v_and_or_b32 v15, 0x1ff, v16, v15
	v_cndmask_b32_e64 v33, 0, 1, vcc_lo
	v_cmp_ne_u32_e32 vcc_lo, 0, v13
	v_mul_f64 v[28:29], v[28:29], s[22:23]
	v_and_or_b32 v17, 0x1ff, v18, v17
	v_and_or_b32 v19, 0x1ff, v20, v19
	v_bfe_u32 v44, v14, 20, 11
	v_cndmask_b32_e64 v13, 0, 1, vcc_lo
	v_cmp_ne_u32_e32 vcc_lo, 0, v15
	v_and_or_b32 v33, 0xffe, v34, v33
	v_mul_f64 v[4:5], v[30:31], s[22:23]
	v_lshrrev_b32_e32 v30, 8, v35
	v_bfe_u32 v31, v35, 20, 11
	v_cndmask_b32_e64 v15, 0, 1, vcc_lo
	v_cmp_ne_u32_e32 vcc_lo, 0, v17
	v_and_or_b32 v22, 0x1ff, v23, v22
	v_and_or_b32 v24, 0x1ff, v25, v24
	;; [unrolled: 1-line block ×4, first 2 shown]
	v_cndmask_b32_e64 v17, 0, 1, vcc_lo
	v_cmp_ne_u32_e32 vcc_lo, 0, v19
	v_bfe_u32 v35, v39, 20, 11
	v_lshrrev_b32_e32 v39, 8, v14
	v_sub_nc_u32_e32 v61, 0x3f1, v31
	v_add_nc_u32_e32 v31, 0xfffffc10, v31
	v_cndmask_b32_e64 v19, 0, 1, vcc_lo
	v_cmp_ne_u32_e32 vcc_lo, 0, v22
	v_and_or_b32 v28, 0x1ff, v29, v28
	v_lshrrev_b32_e32 v45, 8, v16
	v_bfe_u32 v46, v16, 20, 11
	v_bfe_u32 v48, v18, 20, 11
	v_cndmask_b32_e64 v22, 0, 1, vcc_lo
	v_cmp_ne_u32_e32 vcc_lo, 0, v24
	v_and_or_b32 v4, 0x1ff, v5, v4
	v_lshrrev_b32_e32 v59, 8, v5
	v_sub_nc_u32_e32 v62, 0x3f1, v35
	v_add_nc_u32_e32 v35, 0xfffffc10, v35
	v_cndmask_b32_e64 v24, 0, 1, vcc_lo
	v_cmp_ne_u32_e32 vcc_lo, 0, v26
	v_sub_nc_u32_e32 v63, 0x3f1, v44
	v_med3_i32 v30, v61, 0, 13
	v_and_or_b32 v13, 0xffe, v39, v13
	v_lshl_or_b32 v61, v31, 12, v0
	v_cndmask_b32_e64 v26, 0, 1, vcc_lo
	v_cmp_ne_u32_e32 vcc_lo, 0, v28
	v_lshrrev_b32_e32 v47, 8, v18
	v_bfe_u32 v50, v20, 20, 11
	v_bfe_u32 v52, v23, 20, 11
	v_add_nc_u32_e32 v44, 0xfffffc10, v44
	v_cndmask_b32_e64 v28, 0, 1, vcc_lo
	v_cmp_ne_u32_e32 vcc_lo, 0, v4
	v_sub_nc_u32_e32 v64, 0x3f1, v46
	v_sub_nc_u32_e32 v65, 0x3f1, v48
	v_med3_i32 v34, v62, 0, 13
	v_med3_i32 v39, v63, 0, 13
	v_cndmask_b32_e64 v4, 0, 1, vcc_lo
	v_cmp_ne_u32_e32 vcc_lo, 0, v0
	v_and_or_b32 v15, 0xffe, v45, v15
	v_or_b32_e32 v62, 0x1000, v33
	v_lshl_or_b32 v63, v35, 12, v33
	v_and_or_b32 v4, 0xffe, v59, v4
	v_or_b32_e32 v59, 0x1000, v0
	v_cndmask_b32_e64 v0, 0, 1, vcc_lo
	v_cmp_ne_u32_e32 vcc_lo, 0, v33
	v_lshrrev_b32_e32 v49, 8, v20
	v_lshrrev_b32_e32 v51, 8, v23
	v_bfe_u32 v54, v25, 20, 11
	v_bfe_u32 v56, v27, 20, 11
	v_cndmask_b32_e64 v33, 0, 1, vcc_lo
	v_cmp_ne_u32_e32 vcc_lo, 0, v13
	v_add_nc_u32_e32 v46, 0xfffffc10, v46
	v_sub_nc_u32_e32 v66, 0x3f1, v50
	v_sub_nc_u32_e32 v67, 0x3f1, v52
	v_med3_i32 v45, v64, 0, 13
	v_and_or_b32 v17, 0xffe, v47, v17
	v_med3_i32 v47, v65, 0, 13
	v_or_b32_e32 v64, 0x1000, v13
	v_lshl_or_b32 v65, v44, 12, v13
	v_cndmask_b32_e64 v13, 0, 1, vcc_lo
	v_cmp_ne_u32_e32 vcc_lo, 0, v15
	v_lshrrev_b32_e32 v53, 8, v25
	v_lshrrev_b32_e32 v55, 8, v27
	v_bfe_u32 v58, v29, 20, 11
	v_add_nc_u32_e32 v48, 0xfffffc10, v48
	v_sub_nc_u32_e32 v68, 0x3f1, v54
	v_sub_nc_u32_e32 v69, 0x3f1, v56
	v_and_or_b32 v19, 0xffe, v49, v19
	v_med3_i32 v49, v66, 0, 13
	v_and_or_b32 v22, 0xffe, v51, v22
	v_med3_i32 v51, v67, 0, 13
	v_or_b32_e32 v66, 0x1000, v15
	v_lshl_or_b32 v67, v46, 12, v15
	v_cndmask_b32_e64 v15, 0, 1, vcc_lo
	v_cmp_ne_u32_e32 vcc_lo, 0, v17
	v_lshrrev_b32_e32 v57, 8, v29
	v_add_nc_u32_e32 v50, 0xfffffc10, v50
	v_sub_nc_u32_e32 v70, 0x3f1, v58
	v_and_or_b32 v24, 0xffe, v53, v24
	v_med3_i32 v53, v68, 0, 13
	v_and_or_b32 v26, 0xffe, v55, v26
	v_med3_i32 v55, v69, 0, 13
	v_or_b32_e32 v68, 0x1000, v17
	v_lshl_or_b32 v69, v48, 12, v17
	v_cndmask_b32_e64 v17, 0, 1, vcc_lo
	v_cmp_ne_u32_e32 vcc_lo, 0, v19
	v_add_nc_u32_e32 v52, 0xfffffc10, v52
	v_and_or_b32 v28, 0xffe, v57, v28
	v_med3_i32 v57, v70, 0, 13
	v_or_b32_e32 v70, 0x1000, v19
	v_lshl_or_b32 v72, v50, 12, v19
	v_cndmask_b32_e64 v19, 0, 1, vcc_lo
	v_cmp_ne_u32_e32 vcc_lo, 0, v22
	v_add_nc_u32_e32 v54, 0xfffffc10, v54
	v_or_b32_e32 v73, 0x1000, v22
	v_lshl_or_b32 v74, v52, 12, v22
	v_lshrrev_b32_e32 v81, v30, v59
	v_cndmask_b32_e64 v22, 0, 1, vcc_lo
	v_cmp_ne_u32_e32 vcc_lo, 0, v24
	v_add_nc_u32_e32 v56, 0xfffffc10, v56
	v_or_b32_e32 v75, 0x1000, v24
	v_lshl_or_b32 v76, v54, 12, v24
	v_lshrrev_b32_e32 v82, v34, v62
	v_cndmask_b32_e64 v24, 0, 1, vcc_lo
	v_cmp_ne_u32_e32 vcc_lo, 0, v26
	v_lshlrev_b32_e32 v30, v30, v81
	v_or_b32_e32 v77, 0x1000, v26
	v_lshl_or_b32 v78, v56, 12, v26
	v_lshrrev_b32_e32 v83, v39, v64
	v_cndmask_b32_e64 v26, 0, 1, vcc_lo
	v_lshlrev_b32_e32 v34, v34, v82
	v_cmp_ne_u32_e32 vcc_lo, v30, v59
	v_lshrrev_b32_e32 v84, v45, v66
	v_lshlrev_b32_e32 v39, v39, v83
	v_lshrrev_b32_e32 v85, v47, v68
	v_lshrrev_b32_e32 v86, v49, v70
	v_cndmask_b32_e64 v30, 0, 1, vcc_lo
	v_cmp_ne_u32_e32 vcc_lo, v34, v62
	v_lshlrev_b32_e32 v45, v45, v84
	v_lshlrev_b32_e32 v47, v47, v85
	v_lshrrev_b32_e32 v87, v51, v73
	v_lshlrev_b32_e32 v49, v49, v86
	v_cndmask_b32_e64 v34, 0, 1, vcc_lo
	v_cmp_ne_u32_e32 vcc_lo, v39, v64
	v_lshrrev_b32_e32 v88, v53, v75
	v_lshlrev_b32_e32 v51, v51, v87
	v_or_b32_e32 v79, 0x1000, v28
	v_lshrrev_b32_e32 v89, v55, v77
	v_cndmask_b32_e64 v39, 0, 1, vcc_lo
	v_cmp_ne_u32_e32 vcc_lo, v45, v66
	v_lshlrev_b32_e32 v53, v53, v88
	v_lshrrev_b32_e32 v90, v57, v79
	v_lshlrev_b32_e32 v55, v55, v89
	v_or_b32_e32 v30, v81, v30
	v_cndmask_b32_e64 v45, 0, 1, vcc_lo
	v_cmp_ne_u32_e32 vcc_lo, v47, v68
	v_lshlrev_b32_e32 v57, v57, v90
	v_or_b32_e32 v34, v82, v34
	v_or_b32_e32 v39, v83, v39
	;; [unrolled: 1-line block ×3, first 2 shown]
	v_cndmask_b32_e64 v47, 0, 1, vcc_lo
	v_cmp_ne_u32_e32 vcc_lo, v49, v70
	v_add_nc_u32_e32 v58, 0xfffffc10, v58
	v_lshl_or_b32 v0, v0, 9, 0x7c00
	v_lshl_or_b32 v33, v33, 9, 0x7c00
	v_or_b32_e32 v47, v85, v47
	v_cndmask_b32_e64 v49, 0, 1, vcc_lo
	v_cmp_ne_u32_e32 vcc_lo, v51, v73
	v_lshl_or_b32 v80, v58, 12, v28
	v_lshl_or_b32 v13, v13, 9, 0x7c00
	;; [unrolled: 1-line block ×3, first 2 shown]
	v_or_b32_e32 v49, v86, v49
	v_cndmask_b32_e64 v51, 0, 1, vcc_lo
	v_cmp_ne_u32_e32 vcc_lo, v53, v75
	v_lshl_or_b32 v17, v17, 9, 0x7c00
	v_lshrrev_b32_e32 v14, 16, v14
	v_lshl_or_b32 v19, v19, 9, 0x7c00
	v_or_b32_e32 v51, v87, v51
	v_cndmask_b32_e64 v53, 0, 1, vcc_lo
	v_cmp_ne_u32_e32 vcc_lo, v55, v77
	v_lshrrev_b32_e32 v16, 16, v16
	v_lshl_or_b32 v22, v22, 9, 0x7c00
	v_lshrrev_b32_e32 v18, 16, v18
	v_or_b32_e32 v53, v88, v53
	v_cndmask_b32_e64 v55, 0, 1, vcc_lo
	v_cmp_ne_u32_e32 vcc_lo, v57, v79
	v_lshrrev_b32_e32 v23, 16, v23
	v_lshl_or_b32 v24, v24, 9, 0x7c00
	v_bfe_u32 v60, v5, 20, 11
	v_or_b32_e32 v55, v89, v55
	v_cndmask_b32_e64 v57, 0, 1, vcc_lo
	v_cmp_gt_i32_e32 vcc_lo, 1, v31
	v_lshrrev_b32_e32 v20, 16, v20
	v_lshrrev_b32_e32 v25, 16, v25
	v_lshl_or_b32 v26, v26, 9, 0x7c00
	v_or_b32_e32 v57, v90, v57
	v_cndmask_b32_e32 v30, v61, v30, vcc_lo
	v_cmp_gt_i32_e32 vcc_lo, 1, v35
	v_sub_nc_u32_e32 v71, 0x3f1, v60
	v_and_or_b32 v2, 0x1ff, v3, v2
	v_lshrrev_b32_e32 v27, 16, v27
	v_and_b32_e32 v59, 7, v30
	v_cndmask_b32_e32 v34, v63, v34, vcc_lo
	v_cmp_gt_i32_e32 vcc_lo, 1, v44
	v_lshrrev_b32_e32 v30, 2, v30
	v_lshrrev_b32_e32 v5, 16, v5
	v_cmp_eq_u32_e64 s0, 3, v59
	v_and_b32_e32 v61, 7, v34
	v_cndmask_b32_e32 v39, v65, v39, vcc_lo
	v_cmp_gt_i32_e32 vcc_lo, 1, v46
	v_lshrrev_b32_e32 v34, 2, v34
	v_cmp_lt_i32_e64 s1, 5, v61
	v_and_b32_e32 v62, 7, v39
	v_cndmask_b32_e32 v45, v67, v45, vcc_lo
	v_cmp_gt_i32_e32 vcc_lo, 1, v48
	v_cmp_eq_u32_e64 s2, 3, v61
	v_lshrrev_b32_e32 v39, 2, v39
	v_cmp_lt_i32_e64 s3, 5, v62
	v_and_b32_e32 v63, 7, v45
	v_cndmask_b32_e32 v47, v69, v47, vcc_lo
	v_cmp_gt_i32_e32 vcc_lo, 1, v50
	v_cmp_eq_u32_e64 s4, 3, v62
	;; [unrolled: 6-line block ×6, first 2 shown]
	v_lshrrev_b32_e32 v53, 2, v53
	v_cmp_lt_i32_e64 s13, 5, v67
	v_and_b32_e32 v68, 7, v55
	v_cndmask_b32_e32 v57, v80, v57, vcc_lo
	v_cmp_lt_i32_e32 vcc_lo, 5, v59
	v_cmp_eq_u32_e64 s14, 3, v67
	v_lshrrev_b32_e32 v55, 2, v55
	v_cmp_lt_i32_e64 s15, 5, v68
	v_cmp_eq_u32_e64 s16, 3, v68
	s_or_b32 vcc_lo, s0, vcc_lo
	v_and_b32_e32 v69, 7, v57
	v_add_co_ci_u32_e32 v30, vcc_lo, 0, v30, vcc_lo
	s_or_b32 vcc_lo, s2, s1
	v_add_co_ci_u32_e32 v34, vcc_lo, 0, v34, vcc_lo
	s_or_b32 vcc_lo, s4, s3
	v_cmp_lt_i32_e64 s17, 5, v69
	v_add_co_ci_u32_e32 v39, vcc_lo, 0, v39, vcc_lo
	s_or_b32 vcc_lo, s6, s5
	v_cmp_eq_u32_e64 s18, 3, v69
	v_add_co_ci_u32_e32 v45, vcc_lo, 0, v45, vcc_lo
	s_or_b32 vcc_lo, s8, s7
	v_add_co_ci_u32_e32 v47, vcc_lo, 0, v47, vcc_lo
	s_or_b32 vcc_lo, s10, s9
	;; [unrolled: 2-line block ×5, first 2 shown]
	v_add_co_ci_u32_e32 v55, vcc_lo, 0, v55, vcc_lo
	v_cmp_gt_i32_e32 vcc_lo, 31, v31
	v_cndmask_b32_e32 v30, 0x7c00, v30, vcc_lo
	v_cmp_gt_i32_e32 vcc_lo, 31, v35
	v_cndmask_b32_e32 v34, 0x7c00, v34, vcc_lo
	;; [unrolled: 2-line block ×9, first 2 shown]
	v_cmp_eq_u32_e32 vcc_lo, 0x40f, v31
	v_cndmask_b32_e32 v0, v30, v0, vcc_lo
	v_cmp_eq_u32_e32 vcc_lo, 0x40f, v35
	v_and_or_b32 v0, 0x8000, v32, v0
	v_cndmask_b32_e32 v30, v34, v33, vcc_lo
	v_cmp_eq_u32_e32 vcc_lo, 0x40f, v44
	v_and_b32_e32 v0, 0xffff, v0
	v_and_or_b32 v30, 0x8000, v38, v30
	v_cndmask_b32_e32 v13, v39, v13, vcc_lo
	v_cmp_eq_u32_e32 vcc_lo, 0x40f, v46
	v_lshl_or_b32 v0, v30, 16, v0
	v_and_or_b32 v13, 0x8000, v14, v13
	v_cndmask_b32_e32 v15, v45, v15, vcc_lo
	v_cmp_eq_u32_e32 vcc_lo, 0x40f, v48
	v_and_b32_e32 v13, 0xffff, v13
	v_and_or_b32 v14, 0x8000, v16, v15
	v_cndmask_b32_e32 v17, v47, v17, vcc_lo
	v_cmp_eq_u32_e32 vcc_lo, 0x40f, v50
	v_lshl_or_b32 v13, v14, 16, v13
	v_and_or_b32 v15, 0x8000, v18, v17
	v_cndmask_b32_e32 v19, v49, v19, vcc_lo
	v_cmp_eq_u32_e32 vcc_lo, 0x40f, v52
	global_store_dword v[11:12], v0, off
	global_store_dword v[36:37], v13, off
	v_lshrrev_b32_e32 v0, 2, v57
	v_and_b32_e32 v15, 0xffff, v15
	v_and_or_b32 v16, 0x8000, v20, v19
	v_cndmask_b32_e32 v22, v51, v22, vcc_lo
	v_cmp_eq_u32_e32 vcc_lo, 0x40f, v54
	v_or_b32_e32 v11, 0x1000, v4
	v_med3_i32 v12, v71, 0, 13
	v_lshl_or_b32 v15, v16, 16, v15
	v_and_or_b32 v17, 0x8000, v23, v22
	v_cndmask_b32_e32 v24, v53, v24, vcc_lo
	v_cmp_eq_u32_e32 vcc_lo, 0x40f, v56
	v_lshrrev_b32_e32 v22, 8, v3
	v_bfe_u32 v23, v3, 20, 11
	v_and_b32_e32 v17, 0xffff, v17
	v_and_or_b32 v18, 0x8000, v25, v24
	v_cndmask_b32_e32 v14, v55, v26, vcc_lo
	s_or_b32 vcc_lo, s18, s17
	v_add_co_ci_u32_e32 v0, vcc_lo, 0, v0, vcc_lo
	v_cmp_ne_u32_e32 vcc_lo, 0, v28
	v_lshl_or_b32 v16, v18, 16, v17
	v_lshrrev_b32_e32 v17, 16, v1
	v_lshrrev_b32_e32 v18, v12, v11
	v_and_or_b32 v14, 0x8000, v27, v14
	v_cndmask_b32_e64 v13, 0, 1, vcc_lo
	v_cmp_gt_i32_e32 vcc_lo, 31, v58
	s_waitcnt vmcnt(3)
	v_mul_f16_sdwa v19, v17, v7 dst_sel:DWORD dst_unused:UNUSED_PAD src0_sel:DWORD src1_sel:WORD_1
	v_lshlrev_b32_e32 v12, v12, v18
	v_and_b32_e32 v14, 0xffff, v14
	v_lshl_or_b32 v13, v13, 9, 0x7c00
	v_cndmask_b32_e32 v0, 0x7c00, v0, vcc_lo
	v_cmp_eq_u32_e32 vcc_lo, 0x40f, v58
	v_fmac_f16_e32 v19, v1, v7
	v_cndmask_b32_e32 v0, v0, v13, vcc_lo
	v_cmp_ne_u32_e32 vcc_lo, v12, v11
	v_cvt_f32_f16_e32 v11, v19
	v_lshrrev_b32_e32 v13, 16, v29
	global_load_dword v19, v21, s[20:21] offset:1680
	v_add_nc_u32_e32 v21, 0xfffffc10, v60
	v_cndmask_b32_e64 v20, 0, 1, vcc_lo
	v_cmp_ne_u32_e32 vcc_lo, 0, v2
	v_cvt_f64_f32_e32 v[11:12], v11
	v_and_or_b32 v0, 0x8000, v13, v0
	global_store_dword v[40:41], v15, off
	global_store_dword v[42:43], v16, off
	v_or_b32_e32 v13, v18, v20
	v_cndmask_b32_e64 v2, 0, 1, vcc_lo
	v_lshl_or_b32 v18, v21, 12, v4
	v_cmp_gt_i32_e32 vcc_lo, 1, v21
	v_sub_nc_u32_e32 v20, 0x3f1, v23
	v_lshl_or_b32 v15, v0, 16, v14
	v_and_or_b32 v2, 0xffe, v22, v2
	v_cndmask_b32_e32 v18, v18, v13, vcc_lo
	v_med3_i32 v20, v20, 0, 13
	v_add_co_u32 v13, vcc_lo, v42, s19
	v_or_b32_e32 v22, 0x1000, v2
	v_and_b32_e32 v0, 7, v18
	v_add_co_ci_u32_e32 v14, vcc_lo, s24, v43, vcc_lo
	v_lshrrev_b32_e32 v16, v20, v22
	v_cmp_lt_i32_e32 vcc_lo, 5, v0
	v_mul_f64 v[11:12], v[11:12], s[22:23]
	v_cmp_eq_u32_e64 s0, 3, v0
	v_mul_f16_sdwa v0, v1, v7 dst_sel:DWORD dst_unused:UNUSED_PAD src0_sel:DWORD src1_sel:WORD_1
	v_lshlrev_b32_e32 v20, v20, v16
	v_lshrrev_b32_e32 v1, 2, v18
	global_store_dword v[13:14], v15, off
	s_or_b32 vcc_lo, s0, vcc_lo
	v_fma_f16 v0, v7, v17, -v0
	v_cmp_ne_u32_e64 s1, v20, v22
	v_add_nc_u32_e32 v17, 0x400, v6
	v_add_co_ci_u32_e32 v22, vcc_lo, 0, v1, vcc_lo
	v_cvt_f32_f16_e32 v6, v0
	v_cndmask_b32_e64 v18, 0, 1, s1
	v_add_nc_u32_e32 v20, 0xfffffc10, v23
	v_cmp_ne_u32_e32 vcc_lo, 0, v4
	ds_read2_b32 v[0:1], v17 offset0:38 offset1:80
	v_cvt_f64_f32_e32 v[6:7], v6
	v_or_b32_e32 v16, v16, v18
	v_lshl_or_b32 v18, v20, 12, v2
	v_cndmask_b32_e64 v4, 0, 1, vcc_lo
	v_cmp_gt_i32_e32 vcc_lo, 1, v20
	v_and_or_b32 v11, 0x1ff, v12, v11
	v_lshrrev_b32_e32 v23, 8, v12
	v_bfe_u32 v24, v12, 20, 11
	v_lshl_or_b32 v4, v4, 9, 0x7c00
	v_cndmask_b32_e32 v16, v18, v16, vcc_lo
	v_cmp_gt_i32_e32 vcc_lo, 31, v21
	v_cndmask_b32_e32 v18, 0x7c00, v22, vcc_lo
	v_cmp_ne_u32_e32 vcc_lo, 0, v11
	v_and_b32_e32 v22, 7, v16
	v_lshrrev_b32_e32 v16, 2, v16
	v_cndmask_b32_e64 v11, 0, 1, vcc_lo
	v_cmp_eq_u32_e32 vcc_lo, 0x40f, v21
	v_cmp_eq_u32_e64 s0, 3, v22
	v_mul_f64 v[6:7], v[6:7], s[22:23]
	s_waitcnt lgkmcnt(0)
	v_lshrrev_b32_e32 v21, 16, v0
	v_and_or_b32 v11, 0xffe, v23, v11
	v_cndmask_b32_e32 v4, v18, v4, vcc_lo
	v_cmp_lt_i32_e32 vcc_lo, 5, v22
	v_sub_nc_u32_e32 v18, 0x3f1, v24
	s_waitcnt vmcnt(3)
	v_mul_f16_sdwa v23, v21, v8 dst_sel:DWORD dst_unused:UNUSED_PAD src0_sel:DWORD src1_sel:WORD_1
	v_or_b32_e32 v22, 0x1000, v11
	v_and_or_b32 v4, 0x8000, v5, v4
	s_or_b32 vcc_lo, s0, vcc_lo
	v_med3_i32 v18, v18, 0, 13
	v_add_co_ci_u32_e32 v16, vcc_lo, 0, v16, vcc_lo
	v_cmp_ne_u32_e32 vcc_lo, 0, v2
	v_fmac_f16_e32 v23, v0, v8
	v_lshrrev_b32_e32 v25, v18, v22
	v_and_b32_e32 v4, 0xffff, v4
	v_mul_f16_sdwa v0, v0, v8 dst_sel:DWORD dst_unused:UNUSED_PAD src0_sel:DWORD src1_sel:WORD_1
	v_cndmask_b32_e64 v2, 0, 1, vcc_lo
	v_cmp_gt_i32_e32 vcc_lo, 31, v20
	v_lshlrev_b32_e32 v18, v18, v25
	v_cvt_f32_f16_e32 v23, v23
	v_and_or_b32 v6, 0x1ff, v7, v6
	v_lshl_or_b32 v2, v2, 9, 0x7c00
	v_cndmask_b32_e32 v16, 0x7c00, v16, vcc_lo
	v_cmp_eq_u32_e32 vcc_lo, 0x40f, v20
	v_lshrrev_b32_e32 v20, 16, v3
	v_fma_f16 v0, v8, v21, -v0
	v_cndmask_b32_e32 v16, v16, v2, vcc_lo
	v_cmp_ne_u32_e32 vcc_lo, v18, v22
	v_add_nc_u32_e32 v22, 0xfffffc10, v24
	v_cvt_f64_f32_e32 v[2:3], v23
	v_bfe_u32 v23, v7, 20, 11
	v_and_or_b32 v5, 0x8000, v20, v16
	v_cndmask_b32_e64 v18, 0, 1, vcc_lo
	v_cmp_ne_u32_e32 vcc_lo, 0, v6
	v_lshrrev_b32_e32 v20, 8, v7
	v_cvt_f32_f16_e32 v0, v0
	v_lshl_or_b32 v15, v5, 16, v4
	v_or_b32_e32 v16, v25, v18
	v_lshl_or_b32 v18, v22, 12, v11
	v_cndmask_b32_e64 v6, 0, 1, vcc_lo
	v_cmp_gt_i32_e32 vcc_lo, 1, v22
	v_lshrrev_b32_e32 v7, 16, v7
	v_and_or_b32 v6, 0xffe, v20, v6
	v_cndmask_b32_e32 v16, v18, v16, vcc_lo
	v_sub_nc_u32_e32 v18, 0x3f1, v23
	v_add_co_u32 v4, vcc_lo, v13, s19
	v_or_b32_e32 v24, 0x1000, v6
	v_and_b32_e32 v20, 7, v16
	v_med3_i32 v18, v18, 0, 13
	v_add_co_ci_u32_e32 v5, vcc_lo, s24, v14, vcc_lo
	v_mul_f64 v[2:3], v[2:3], s[22:23]
	v_cmp_lt_i32_e32 vcc_lo, 5, v20
	v_lshrrev_b32_e32 v25, v18, v24
	v_cmp_eq_u32_e64 s0, 3, v20
	v_lshrrev_b32_e32 v13, 2, v16
	global_store_dword v[4:5], v15, off
	v_add_nc_u32_e32 v16, 0xfffffc10, v23
	v_lshlrev_b32_e32 v8, v18, v25
	s_or_b32 vcc_lo, s0, vcc_lo
	v_add_co_ci_u32_e32 v15, vcc_lo, 0, v13, vcc_lo
	v_cmp_ne_u32_e32 vcc_lo, v8, v24
	v_cvt_f64_f32_e32 v[13:14], v0
	v_cndmask_b32_e64 v8, 0, 1, vcc_lo
	v_cmp_ne_u32_e32 vcc_lo, 0, v11
	v_or_b32_e32 v0, v25, v8
	v_cndmask_b32_e64 v11, 0, 1, vcc_lo
	v_cmp_gt_i32_e32 vcc_lo, 31, v22
	v_lshl_or_b32 v8, v16, 12, v6
	v_and_or_b32 v2, 0x1ff, v3, v2
	v_bfe_u32 v18, v3, 20, 11
	v_lshl_or_b32 v11, v11, 9, 0x7c00
	v_cndmask_b32_e32 v15, 0x7c00, v15, vcc_lo
	v_cmp_gt_i32_e32 vcc_lo, 1, v16
	v_sub_nc_u32_e32 v21, 0x3f1, v18
	v_add_nc_u32_e32 v18, 0xfffffc10, v18
	v_cndmask_b32_e32 v0, v8, v0, vcc_lo
	v_cmp_ne_u32_e32 vcc_lo, 0, v2
	v_lshrrev_b32_e32 v8, 8, v3
	v_lshrrev_b32_e32 v3, 16, v3
	v_and_b32_e32 v20, 7, v0
	v_cndmask_b32_e64 v2, 0, 1, vcc_lo
	v_cmp_eq_u32_e32 vcc_lo, 0x40f, v22
	v_lshrrev_b32_e32 v22, 16, v1
	v_lshrrev_b32_e32 v0, 2, v0
	v_cmp_eq_u32_e64 s0, 3, v20
	v_and_or_b32 v2, 0xffe, v8, v2
	v_cndmask_b32_e32 v15, v15, v11, vcc_lo
	v_cmp_lt_i32_e32 vcc_lo, 5, v20
	v_lshrrev_b32_e32 v8, 16, v12
	v_mul_f64 v[11:12], v[13:14], s[22:23]
	v_or_b32_e32 v23, 0x1000, v2
	v_med3_i32 v13, v21, 0, 13
	s_or_b32 vcc_lo, s0, vcc_lo
	s_waitcnt vmcnt(2)
	v_mul_f16_sdwa v14, v22, v10 dst_sel:DWORD dst_unused:UNUSED_PAD src0_sel:DWORD src1_sel:WORD_1
	v_add_co_ci_u32_e32 v0, vcc_lo, 0, v0, vcc_lo
	v_and_or_b32 v8, 0x8000, v8, v15
	v_lshrrev_b32_e32 v15, v13, v23
	v_cmp_ne_u32_e32 vcc_lo, 0, v6
	v_fmac_f16_e32 v14, v1, v10
	v_mul_f16_sdwa v1, v1, v10 dst_sel:DWORD dst_unused:UNUSED_PAD src0_sel:DWORD src1_sel:WORD_1
	v_and_b32_e32 v8, 0xffff, v8
	v_lshlrev_b32_e32 v20, v13, v15
	v_cndmask_b32_e64 v6, 0, 1, vcc_lo
	v_cmp_gt_i32_e32 vcc_lo, 31, v16
	v_cvt_f32_f16_e32 v14, v14
	v_fma_f16 v10, v10, v22, -v1
	v_lshl_or_b32 v6, v6, 9, 0x7c00
	v_cndmask_b32_e32 v0, 0x7c00, v0, vcc_lo
	v_cmp_ne_u32_e32 vcc_lo, v20, v23
	v_cvt_f64_f32_e32 v[13:14], v14
	v_and_or_b32 v11, 0x1ff, v12, v11
	v_cvt_f32_f16_e32 v10, v10
	v_cndmask_b32_e64 v20, 0, 1, vcc_lo
	v_cmp_eq_u32_e32 vcc_lo, 0x40f, v16
	v_lshrrev_b32_e32 v16, 8, v12
	v_cndmask_b32_e32 v0, v0, v6, vcc_lo
	v_cmp_ne_u32_e32 vcc_lo, 0, v11
	v_or_b32_e32 v6, v15, v20
	v_lshl_or_b32 v15, v18, 12, v2
	v_bfe_u32 v20, v12, 20, 11
	v_and_or_b32 v0, 0x8000, v7, v0
	v_cndmask_b32_e64 v11, 0, 1, vcc_lo
	v_cmp_gt_i32_e32 vcc_lo, 1, v18
	v_lshrrev_b32_e32 v12, 16, v12
	v_and_or_b32 v16, 0xffe, v16, v11
	v_cndmask_b32_e32 v15, v15, v6, vcc_lo
	v_sub_nc_u32_e32 v6, 0x3f1, v20
	v_or_b32_e32 v21, 0x1000, v16
	v_and_b32_e32 v11, 7, v15
	v_med3_i32 v23, v6, 0, 13
	v_mul_f64 v[6:7], v[13:14], s[22:23]
	v_lshl_or_b32 v14, v0, 16, v8
	v_add_co_u32 v0, s1, v4, s19
	v_lshrrev_b32_e32 v8, v23, v21
	v_cmp_lt_i32_e32 vcc_lo, 5, v11
	v_cmp_eq_u32_e64 s0, 3, v11
	v_lshrrev_b32_e32 v4, 2, v15
	v_add_co_ci_u32_e64 v1, s1, s24, v5, s1
	v_lshlrev_b32_e32 v11, v23, v8
	s_or_b32 vcc_lo, s0, vcc_lo
	v_add_co_ci_u32_e32 v13, vcc_lo, 0, v4, vcc_lo
	v_cmp_ne_u32_e32 vcc_lo, v11, v21
	ds_read2_b32 v[4:5], v17 offset0:122 offset1:164
	v_add_nc_u32_e32 v17, 0xfffffc10, v20
	v_cvt_f64_f32_e32 v[10:11], v10
	v_cndmask_b32_e64 v15, 0, 1, vcc_lo
	v_cmp_gt_i32_e32 vcc_lo, 31, v18
	v_and_or_b32 v6, 0x1ff, v7, v6
	v_lshrrev_b32_e32 v20, 8, v7
	v_bfe_u32 v21, v7, 20, 11
	v_or_b32_e32 v8, v8, v15
	v_cndmask_b32_e32 v13, 0x7c00, v13, vcc_lo
	v_cmp_ne_u32_e32 vcc_lo, 0, v6
	v_lshl_or_b32 v15, v17, 12, v16
	v_cndmask_b32_e64 v6, 0, 1, vcc_lo
	v_cmp_ne_u32_e32 vcc_lo, 0, v2
	v_and_or_b32 v6, 0xffe, v20, v6
	v_cndmask_b32_e64 v2, 0, 1, vcc_lo
	v_cmp_gt_i32_e32 vcc_lo, 1, v17
	s_waitcnt lgkmcnt(0)
	v_lshrrev_b32_e32 v20, 16, v4
	v_mul_f64 v[10:11], v[10:11], s[22:23]
	v_or_b32_e32 v23, 0x1000, v6
	v_lshl_or_b32 v2, v2, 9, 0x7c00
	v_cndmask_b32_e32 v8, v15, v8, vcc_lo
	v_sub_nc_u32_e32 v15, 0x3f1, v21
	v_cmp_eq_u32_e32 vcc_lo, 0x40f, v18
	s_waitcnt vmcnt(1)
	v_mul_f16_sdwa v24, v20, v9 dst_sel:DWORD dst_unused:UNUSED_PAD src0_sel:DWORD src1_sel:WORD_1
	v_add_nc_u32_e32 v21, 0xfffffc10, v21
	v_and_b32_e32 v22, 7, v8
	v_med3_i32 v15, v15, 0, 13
	v_cndmask_b32_e32 v2, v13, v2, vcc_lo
	v_fmac_f16_e32 v24, v4, v9
	v_mul_f16_sdwa v4, v4, v9 dst_sel:DWORD dst_unused:UNUSED_PAD src0_sel:DWORD src1_sel:WORD_1
	v_cmp_lt_i32_e32 vcc_lo, 5, v22
	v_lshrrev_b32_e32 v13, v15, v23
	v_cmp_eq_u32_e64 s0, 3, v22
	v_and_or_b32 v18, 0x8000, v3, v2
	v_lshrrev_b32_e32 v2, 2, v8
	v_cvt_f32_f16_e32 v8, v24
	v_lshlrev_b32_e32 v3, v15, v13
	s_or_b32 vcc_lo, s0, vcc_lo
	v_fma_f16 v4, v9, v20, -v4
	v_add_co_ci_u32_e32 v15, vcc_lo, 0, v2, vcc_lo
	v_cmp_ne_u32_e32 vcc_lo, v3, v23
	v_cvt_f64_f32_e32 v[2:3], v8
	v_and_or_b32 v10, 0x1ff, v11, v10
	v_cvt_f32_f16_e32 v4, v4
	v_cndmask_b32_e64 v22, 0, 1, vcc_lo
	v_cmp_ne_u32_e32 vcc_lo, 0, v16
	v_lshl_or_b32 v16, v21, 12, v6
	v_or_b32_e32 v13, v13, v22
	v_cndmask_b32_e64 v8, 0, 1, vcc_lo
	v_cmp_gt_i32_e32 vcc_lo, 31, v17
	v_bfe_u32 v22, v11, 20, 11
	v_lshl_or_b32 v8, v8, 9, 0x7c00
	v_cndmask_b32_e32 v15, 0x7c00, v15, vcc_lo
	v_cmp_gt_i32_e32 vcc_lo, 1, v21
	v_cndmask_b32_e32 v13, v16, v13, vcc_lo
	v_cmp_ne_u32_e32 vcc_lo, 0, v10
	v_lshrrev_b32_e32 v16, 8, v11
	v_mul_f64 v[2:3], v[2:3], s[22:23]
	v_and_b32_e32 v23, 7, v13
	v_cndmask_b32_e64 v10, 0, 1, vcc_lo
	v_cmp_eq_u32_e32 vcc_lo, 0x40f, v17
	v_cmp_eq_u32_e64 s0, 3, v23
	v_and_or_b32 v10, 0xffe, v16, v10
	v_cndmask_b32_e32 v8, v15, v8, vcc_lo
	v_sub_nc_u32_e32 v15, 0x3f1, v22
	v_cmp_lt_i32_e32 vcc_lo, 5, v23
	v_or_b32_e32 v16, 0x1000, v10
	v_and_or_b32 v8, 0x8000, v12, v8
	v_lshrrev_b32_e32 v12, 2, v13
	v_med3_i32 v15, v15, 0, 13
	s_or_b32 vcc_lo, s0, vcc_lo
	v_and_b32_e32 v13, 0xffff, v18
	v_add_co_ci_u32_e32 v12, vcc_lo, 0, v12, vcc_lo
	v_lshrrev_b32_e32 v17, v15, v16
	v_cmp_ne_u32_e32 vcc_lo, 0, v6
	v_lshl_or_b32 v18, v8, 16, v13
	v_and_or_b32 v2, 0x1ff, v3, v2
	v_lshlrev_b32_e32 v8, v15, v17
	v_cndmask_b32_e64 v6, 0, 1, vcc_lo
	v_cmp_gt_i32_e32 vcc_lo, 31, v21
	v_add_nc_u32_e32 v15, 0xfffffc10, v22
	v_lshl_or_b32 v6, v6, 9, 0x7c00
	v_cndmask_b32_e32 v12, 0x7c00, v12, vcc_lo
	v_cmp_ne_u32_e32 vcc_lo, v8, v16
	v_lshl_or_b32 v13, v15, 12, v10
	v_lshrrev_b32_e32 v16, 8, v3
	v_cndmask_b32_e64 v8, 0, 1, vcc_lo
	v_cmp_eq_u32_e32 vcc_lo, 0x40f, v21
	v_cndmask_b32_e32 v12, v12, v6, vcc_lo
	v_cmp_ne_u32_e32 vcc_lo, 0, v2
	v_or_b32_e32 v6, v17, v8
	v_bfe_u32 v17, v3, 20, 11
	v_cvt_f64_f32_e32 v[8:9], v4
	v_lshrrev_b32_e32 v3, 16, v3
	v_cndmask_b32_e64 v2, 0, 1, vcc_lo
	v_cmp_gt_i32_e32 vcc_lo, 1, v15
	v_and_or_b32 v2, 0xffe, v16, v2
	v_cndmask_b32_e32 v4, v13, v6, vcc_lo
	v_sub_nc_u32_e32 v6, 0x3f1, v17
	v_lshrrev_b32_e32 v16, 16, v5
	v_lshrrev_b32_e32 v13, 16, v7
	v_or_b32_e32 v21, 0x1000, v2
	v_and_b32_e32 v20, 7, v4
	v_med3_i32 v22, v6, 0, 13
	s_waitcnt vmcnt(0)
	v_mul_f16_sdwa v23, v16, v19 dst_sel:DWORD dst_unused:UNUSED_PAD src0_sel:DWORD src1_sel:WORD_1
	v_add_co_u32 v6, vcc_lo, v0, s19
	v_add_co_ci_u32_e32 v7, vcc_lo, s24, v1, vcc_lo
	v_lshrrev_b32_e32 v25, v22, v21
	v_cmp_lt_i32_e32 vcc_lo, 5, v20
	v_cmp_eq_u32_e64 s0, 3, v20
	v_fmac_f16_e32 v23, v5, v19
	v_lshrrev_b32_e32 v4, 2, v4
	v_lshlrev_b32_e32 v20, v22, v25
	v_and_or_b32 v24, 0x8000, v13, v12
	s_or_b32 vcc_lo, s0, vcc_lo
	v_cvt_f32_f16_e32 v12, v23
	v_add_co_ci_u32_e32 v4, vcc_lo, 0, v4, vcc_lo
	v_mul_f64 v[8:9], v[8:9], s[22:23]
	v_cmp_ne_u32_e32 vcc_lo, v20, v21
	v_cvt_f64_f32_e32 v[12:13], v12
	v_add_nc_u32_e32 v17, 0xfffffc10, v17
	v_mul_f16_sdwa v5, v5, v19 dst_sel:DWORD dst_unused:UNUSED_PAD src0_sel:DWORD src1_sel:WORD_1
	v_cndmask_b32_e64 v20, 0, 1, vcc_lo
	v_cmp_ne_u32_e32 vcc_lo, 0, v10
	v_lshl_or_b32 v21, v17, 12, v2
	v_fma_f16 v5, v19, v16, -v5
	v_lshrrev_b32_e32 v19, 16, v11
	v_or_b32_e32 v20, v25, v20
	v_cndmask_b32_e64 v10, 0, 1, vcc_lo
	v_cmp_gt_i32_e32 vcc_lo, 31, v15
	v_cvt_f32_f16_e32 v5, v5
	v_lshl_or_b32 v10, v10, 9, 0x7c00
	v_cndmask_b32_e32 v4, 0x7c00, v4, vcc_lo
	v_cmp_gt_i32_e32 vcc_lo, 1, v17
	v_and_or_b32 v8, 0x1ff, v9, v8
	v_cndmask_b32_e32 v16, v21, v20, vcc_lo
	v_cmp_eq_u32_e32 vcc_lo, 0x40f, v15
	v_and_b32_e32 v20, 7, v16
	v_cndmask_b32_e32 v15, v4, v10, vcc_lo
	v_mul_f64 v[10:11], v[12:13], s[22:23]
	v_cvt_f64_f32_e32 v[4:5], v5
	v_cmp_ne_u32_e32 vcc_lo, 0, v8
	v_lshrrev_b32_e32 v12, 8, v9
	v_bfe_u32 v13, v9, 20, 11
	v_cmp_eq_u32_e64 s0, 3, v20
	v_lshrrev_b32_e32 v16, 2, v16
	v_cndmask_b32_e64 v8, 0, 1, vcc_lo
	v_cmp_lt_i32_e32 vcc_lo, 5, v20
	v_and_or_b32 v15, 0x8000, v19, v15
	v_and_b32_e32 v19, 0xffff, v24
	v_lshrrev_b32_e32 v9, 16, v9
	v_and_or_b32 v8, 0xffe, v12, v8
	v_sub_nc_u32_e32 v12, 0x3f1, v13
	s_or_b32 vcc_lo, s0, vcc_lo
	v_lshl_or_b32 v15, v15, 16, v19
	v_add_co_ci_u32_e32 v16, vcc_lo, 0, v16, vcc_lo
	v_or_b32_e32 v19, 0x1000, v8
	v_med3_i32 v12, v12, 0, 13
	v_cmp_ne_u32_e32 vcc_lo, 0, v2
	v_add_nc_u32_e32 v13, 0xfffffc10, v13
	v_and_or_b32 v10, 0x1ff, v11, v10
	v_mul_f64 v[4:5], v[4:5], s[22:23]
	v_lshrrev_b32_e32 v20, v12, v19
	v_cndmask_b32_e64 v2, 0, 1, vcc_lo
	v_cmp_gt_i32_e32 vcc_lo, 31, v17
	v_lshrrev_b32_e32 v21, 8, v11
	v_bfe_u32 v22, v11, 20, 11
	v_lshlrev_b32_e32 v12, v12, v20
	v_lshl_or_b32 v2, v2, 9, 0x7c00
	v_cndmask_b32_e32 v16, 0x7c00, v16, vcc_lo
	v_cmp_ne_u32_e32 vcc_lo, 0, v10
	v_lshrrev_b32_e32 v11, 16, v11
	v_cndmask_b32_e64 v10, 0, 1, vcc_lo
	v_cmp_ne_u32_e32 vcc_lo, v12, v19
	v_sub_nc_u32_e32 v19, 0x3f1, v22
	v_and_or_b32 v10, 0xffe, v21, v10
	v_cndmask_b32_e64 v12, 0, 1, vcc_lo
	v_cmp_eq_u32_e32 vcc_lo, 0x40f, v17
	v_med3_i32 v19, v19, 0, 13
	v_and_or_b32 v4, 0x1ff, v5, v4
	v_or_b32_e32 v17, 0x1000, v10
	v_or_b32_e32 v12, v20, v12
	v_cndmask_b32_e32 v2, v16, v2, vcc_lo
	v_lshl_or_b32 v16, v13, 12, v8
	v_cmp_gt_i32_e32 vcc_lo, 1, v13
	v_lshrrev_b32_e32 v20, 8, v5
	v_bfe_u32 v21, v5, 20, 11
	v_and_or_b32 v2, 0x8000, v3, v2
	v_lshrrev_b32_e32 v5, 16, v5
	v_cndmask_b32_e32 v12, v16, v12, vcc_lo
	v_lshrrev_b32_e32 v16, v19, v17
	v_cmp_ne_u32_e32 vcc_lo, 0, v4
	v_and_b32_e32 v23, 7, v12
	v_lshlrev_b32_e32 v19, v19, v16
	v_cndmask_b32_e64 v4, 0, 1, vcc_lo
	v_lshrrev_b32_e32 v12, 2, v12
	v_cmp_lt_i32_e32 vcc_lo, 5, v23
	v_cmp_ne_u32_e64 s0, v19, v17
	v_and_or_b32 v3, 0xffe, v20, v4
	v_sub_nc_u32_e32 v4, 0x3f1, v21
	v_add_nc_u32_e32 v20, 0xfffffc10, v22
	v_cndmask_b32_e64 v17, 0, 1, s0
	v_cmp_eq_u32_e64 s0, 3, v23
	v_or_b32_e32 v19, 0x1000, v3
	v_med3_i32 v4, v4, 0, 13
	v_lshl_or_b32 v22, v20, 12, v10
	v_or_b32_e32 v16, v16, v17
	s_or_b32 vcc_lo, s0, vcc_lo
	v_add_co_ci_u32_e32 v12, vcc_lo, 0, v12, vcc_lo
	v_lshrrev_b32_e32 v17, v4, v19
	v_cmp_gt_i32_e32 vcc_lo, 1, v20
	v_lshlrev_b32_e32 v4, v4, v17
	v_cndmask_b32_e32 v16, v22, v16, vcc_lo
	v_cmp_ne_u32_e32 vcc_lo, 0, v8
	v_cndmask_b32_e64 v8, 0, 1, vcc_lo
	v_cmp_ne_u32_e32 vcc_lo, v4, v19
	v_add_nc_u32_e32 v19, 0xfffffc10, v21
	v_and_b32_e32 v21, 7, v16
	v_lshl_or_b32 v8, v8, 9, 0x7c00
	v_cndmask_b32_e64 v4, 0, 1, vcc_lo
	v_cmp_gt_i32_e32 vcc_lo, 31, v13
	v_cmp_gt_i32_e64 s1, 1, v19
	v_cmp_eq_u32_e64 s0, 3, v21
	v_or_b32_e32 v4, v17, v4
	v_lshl_or_b32 v17, v19, 12, v3
	v_cndmask_b32_e32 v12, 0x7c00, v12, vcc_lo
	v_cmp_lt_i32_e32 vcc_lo, 5, v21
	v_cndmask_b32_e64 v4, v17, v4, s1
	v_cmp_eq_u32_e64 s1, 0x40f, v13
	s_or_b32 vcc_lo, s0, vcc_lo
	v_and_b32_e32 v13, 7, v4
	v_cndmask_b32_e64 v8, v12, v8, s1
	v_lshrrev_b32_e32 v12, 2, v16
	v_lshrrev_b32_e32 v4, 2, v4
	v_cmp_gt_i32_e64 s1, 31, v20
	v_cmp_eq_u32_e64 s0, 3, v13
	v_and_or_b32 v8, 0x8000, v9, v8
	v_add_co_ci_u32_e32 v12, vcc_lo, 0, v12, vcc_lo
	v_cmp_ne_u32_e32 vcc_lo, 0, v10
	v_and_b32_e32 v9, 0xffff, v2
	v_cndmask_b32_e64 v12, 0x7c00, v12, s1
	v_cndmask_b32_e64 v10, 0, 1, vcc_lo
	v_cmp_lt_i32_e32 vcc_lo, 5, v13
	v_lshl_or_b32 v10, v10, 9, 0x7c00
	s_or_b32 vcc_lo, s0, vcc_lo
	v_add_co_ci_u32_e32 v4, vcc_lo, 0, v4, vcc_lo
	v_cmp_ne_u32_e32 vcc_lo, 0, v3
	v_cndmask_b32_e64 v3, 0, 1, vcc_lo
	v_cmp_eq_u32_e32 vcc_lo, 0x40f, v20
	v_lshl_or_b32 v3, v3, 9, 0x7c00
	v_cndmask_b32_e32 v10, v12, v10, vcc_lo
	v_cmp_gt_i32_e32 vcc_lo, 31, v19
	v_and_or_b32 v10, 0x8000, v11, v10
	v_cndmask_b32_e32 v4, 0x7c00, v4, vcc_lo
	v_cmp_eq_u32_e32 vcc_lo, 0x40f, v19
	v_lshl_or_b32 v11, v8, 16, v9
	v_and_b32_e32 v9, 0xffff, v10
	v_cndmask_b32_e32 v4, v4, v3, vcc_lo
	v_add_co_u32 v2, vcc_lo, v6, s19
	v_add_co_ci_u32_e32 v3, vcc_lo, s24, v7, vcc_lo
	v_and_or_b32 v8, 0x8000, v5, v4
	v_add_co_u32 v4, vcc_lo, v2, s19
	v_add_co_ci_u32_e32 v5, vcc_lo, s24, v3, vcc_lo
	v_lshl_or_b32 v10, v8, 16, v9
	v_add_co_u32 v8, vcc_lo, v4, s19
	v_add_co_ci_u32_e32 v9, vcc_lo, s24, v5, vcc_lo
	global_store_dword v[0:1], v14, off
	global_store_dword v[6:7], v18, off
	;; [unrolled: 1-line block ×5, first 2 shown]
.LBB0_23:
	s_endpgm
	.section	.rodata,"a",@progbits
	.p2align	6, 0x0
	.amdhsa_kernel bluestein_single_back_len462_dim1_half_op_CI_CI
		.amdhsa_group_segment_fixed_size 5544
		.amdhsa_private_segment_fixed_size 0
		.amdhsa_kernarg_size 104
		.amdhsa_user_sgpr_count 6
		.amdhsa_user_sgpr_private_segment_buffer 1
		.amdhsa_user_sgpr_dispatch_ptr 0
		.amdhsa_user_sgpr_queue_ptr 0
		.amdhsa_user_sgpr_kernarg_segment_ptr 1
		.amdhsa_user_sgpr_dispatch_id 0
		.amdhsa_user_sgpr_flat_scratch_init 0
		.amdhsa_user_sgpr_private_segment_size 0
		.amdhsa_wavefront_size32 1
		.amdhsa_uses_dynamic_stack 0
		.amdhsa_system_sgpr_private_segment_wavefront_offset 0
		.amdhsa_system_sgpr_workgroup_id_x 1
		.amdhsa_system_sgpr_workgroup_id_y 0
		.amdhsa_system_sgpr_workgroup_id_z 0
		.amdhsa_system_sgpr_workgroup_info 0
		.amdhsa_system_vgpr_workitem_id 0
		.amdhsa_next_free_vgpr 102
		.amdhsa_next_free_sgpr 25
		.amdhsa_reserve_vcc 1
		.amdhsa_reserve_flat_scratch 0
		.amdhsa_float_round_mode_32 0
		.amdhsa_float_round_mode_16_64 0
		.amdhsa_float_denorm_mode_32 3
		.amdhsa_float_denorm_mode_16_64 3
		.amdhsa_dx10_clamp 1
		.amdhsa_ieee_mode 1
		.amdhsa_fp16_overflow 0
		.amdhsa_workgroup_processor_mode 1
		.amdhsa_memory_ordered 1
		.amdhsa_forward_progress 0
		.amdhsa_shared_vgpr_count 0
		.amdhsa_exception_fp_ieee_invalid_op 0
		.amdhsa_exception_fp_denorm_src 0
		.amdhsa_exception_fp_ieee_div_zero 0
		.amdhsa_exception_fp_ieee_overflow 0
		.amdhsa_exception_fp_ieee_underflow 0
		.amdhsa_exception_fp_ieee_inexact 0
		.amdhsa_exception_int_div_zero 0
	.end_amdhsa_kernel
	.text
.Lfunc_end0:
	.size	bluestein_single_back_len462_dim1_half_op_CI_CI, .Lfunc_end0-bluestein_single_back_len462_dim1_half_op_CI_CI
                                        ; -- End function
	.section	.AMDGPU.csdata,"",@progbits
; Kernel info:
; codeLenInByte = 15960
; NumSgprs: 27
; NumVgprs: 102
; ScratchSize: 0
; MemoryBound: 0
; FloatMode: 240
; IeeeMode: 1
; LDSByteSize: 5544 bytes/workgroup (compile time only)
; SGPRBlocks: 3
; VGPRBlocks: 12
; NumSGPRsForWavesPerEU: 27
; NumVGPRsForWavesPerEU: 102
; Occupancy: 9
; WaveLimiterHint : 1
; COMPUTE_PGM_RSRC2:SCRATCH_EN: 0
; COMPUTE_PGM_RSRC2:USER_SGPR: 6
; COMPUTE_PGM_RSRC2:TRAP_HANDLER: 0
; COMPUTE_PGM_RSRC2:TGID_X_EN: 1
; COMPUTE_PGM_RSRC2:TGID_Y_EN: 0
; COMPUTE_PGM_RSRC2:TGID_Z_EN: 0
; COMPUTE_PGM_RSRC2:TIDIG_COMP_CNT: 0
	.text
	.p2alignl 6, 3214868480
	.fill 48, 4, 3214868480
	.type	__hip_cuid_4e3d8d260af949e9,@object ; @__hip_cuid_4e3d8d260af949e9
	.section	.bss,"aw",@nobits
	.globl	__hip_cuid_4e3d8d260af949e9
__hip_cuid_4e3d8d260af949e9:
	.byte	0                               ; 0x0
	.size	__hip_cuid_4e3d8d260af949e9, 1

	.ident	"AMD clang version 19.0.0git (https://github.com/RadeonOpenCompute/llvm-project roc-6.4.0 25133 c7fe45cf4b819c5991fe208aaa96edf142730f1d)"
	.section	".note.GNU-stack","",@progbits
	.addrsig
	.addrsig_sym __hip_cuid_4e3d8d260af949e9
	.amdgpu_metadata
---
amdhsa.kernels:
  - .args:
      - .actual_access:  read_only
        .address_space:  global
        .offset:         0
        .size:           8
        .value_kind:     global_buffer
      - .actual_access:  read_only
        .address_space:  global
        .offset:         8
        .size:           8
        .value_kind:     global_buffer
      - .actual_access:  read_only
        .address_space:  global
        .offset:         16
        .size:           8
        .value_kind:     global_buffer
      - .actual_access:  read_only
        .address_space:  global
        .offset:         24
        .size:           8
        .value_kind:     global_buffer
      - .actual_access:  read_only
        .address_space:  global
        .offset:         32
        .size:           8
        .value_kind:     global_buffer
      - .offset:         40
        .size:           8
        .value_kind:     by_value
      - .address_space:  global
        .offset:         48
        .size:           8
        .value_kind:     global_buffer
      - .address_space:  global
        .offset:         56
        .size:           8
        .value_kind:     global_buffer
      - .address_space:  global
        .offset:         64
        .size:           8
        .value_kind:     global_buffer
      - .address_space:  global
        .offset:         72
        .size:           8
        .value_kind:     global_buffer
      - .offset:         80
        .size:           4
        .value_kind:     by_value
      - .address_space:  global
        .offset:         88
        .size:           8
        .value_kind:     global_buffer
      - .address_space:  global
        .offset:         96
        .size:           8
        .value_kind:     global_buffer
    .group_segment_fixed_size: 5544
    .kernarg_segment_align: 8
    .kernarg_segment_size: 104
    .language:       OpenCL C
    .language_version:
      - 2
      - 0
    .max_flat_workgroup_size: 231
    .name:           bluestein_single_back_len462_dim1_half_op_CI_CI
    .private_segment_fixed_size: 0
    .sgpr_count:     27
    .sgpr_spill_count: 0
    .symbol:         bluestein_single_back_len462_dim1_half_op_CI_CI.kd
    .uniform_work_group_size: 1
    .uses_dynamic_stack: false
    .vgpr_count:     102
    .vgpr_spill_count: 0
    .wavefront_size: 32
    .workgroup_processor_mode: 1
amdhsa.target:   amdgcn-amd-amdhsa--gfx1030
amdhsa.version:
  - 1
  - 2
...

	.end_amdgpu_metadata
